;; amdgpu-corpus repo=ROCm/aiter kind=harvested arch=n/a opt=n/a

/root/src/amdgpu-assembly/repos/ROCm__aiter/hsa/gfx942/pa/pa_bf16_pertokenFp8_gqa16_1tg_4w_qlen40_msk1_ps.co:	file format elf64-amdgpu

Disassembly of section .text:

0000000000002800 <_ZN5aiter42PA_A16W8_BLK1024_1TG_4W_40mx1_64nx4_MTP_PSE>:
	s_and_b32 s1, s1, 0xffff                                   // 000000002800: 8601FF01 0000FFFF
	s_load_dwordx2 s[4:5], s[0:1], 0x0                         // 000000002808: C0060100 00000000
	s_load_dwordx2 s[8:9], s[0:1], 0x10                        // 000000002810: C0060200 00000010
	s_load_dwordx2 s[12:13], s[0:1], 0x20                      // 000000002818: C0060300 00000020
	s_load_dwordx2 s[16:17], s[0:1], 0x30                      // 000000002820: C0060400 00000030
	s_load_dwordx2 s[42:43], s[0:1], 0x40                      // 000000002828: C0060A80 00000040
	s_load_dwordx2 s[40:41], s[0:1], 0x50                      // 000000002830: C0060A00 00000050
	s_load_dwordx2 s[20:21], s[0:1], 0x60                      // 000000002838: C0060500 00000060
	s_load_dwordx2 s[24:25], s[0:1], 0x70                      // 000000002840: C0060600 00000070
	s_load_dword s46, s[0:1], 0x80                             // 000000002848: C0020B80 00000080
	s_load_dword s48, s[0:1], 0x90                             // 000000002850: C0020C00 00000090
	s_load_dword s49, s[0:1], 0xa0                             // 000000002858: C0020C40 000000A0
	s_load_dword s50, s[0:1], 0xb0                             // 000000002860: C0020C80 000000B0
	s_load_dword s51, s[0:1], 0xc0                             // 000000002868: C0020CC0 000000C0
	s_load_dword s52, s[0:1], 0xd0                             // 000000002870: C0020D00 000000D0
	s_load_dword s53, s[0:1], 0xe0                             // 000000002878: C0020D40 000000E0
	s_load_dwordx2 s[44:45], s[0:1], 0x100                     // 000000002880: C0060B00 00000100
	s_load_dwordx2 s[36:37], s[0:1], 0x110                     // 000000002888: C0060900 00000110
	s_load_dwordx2 s[38:39], s[0:1], 0x120                     // 000000002890: C0060980 00000120
	s_load_dwordx2 s[28:29], s[0:1], 0x130                     // 000000002898: C0060700 00000130
	s_load_dwordx2 s[32:33], s[0:1], 0x140                     // 0000000028A0: C0060800 00000140
	s_load_dword s101, s[0:1], 0x150                           // 0000000028A8: C0021940 00000150
	s_load_dword s66, s[0:1], 0x160                            // 0000000028B0: C0021080 00000160
	v_lshrrev_b32_e32 v1, 10, v0                               // 0000000028B8: 2002008A
	v_lshrrev_b32_e32 v2, 10, v1                               // 0000000028BC: 2004028A
	v_and_b32_e32 v2, 0x3ff, v2                                // 0000000028C0: 260404FF 000003FF
	v_and_b32_e32 v1, 0x3ff, v1                                // 0000000028C8: 260202FF 000003FF
	v_and_b32_e32 v0, 0x3ff, v0                                // 0000000028D0: 260000FF 000003FF
	v_lshrrev_b32_e32 v3, 6, v0                                // 0000000028D8: 20060086
	v_and_b32_e32 v0, 63, v0                                   // 0000000028DC: 260000BF
	s_mov_b32 s58, s2                                          // 0000000028E0: BEBA0002
	v_readfirstlane_b32 s57, v3                                // 0000000028E4: 7E720503
	s_mov_b32 s56, 0x7060302                                   // 0000000028E8: BEB800FF 07060302
	v_mov_b32_e32 v216, 0xffff0000                             // 0000000028F0: 7FB002FF FFFF0000
	v_mov_b32_e32 v217, 0x7fff0000                             // 0000000028F8: 7FB202FF 7FFF0000
	v_mov_b32_e32 v218, 0x7fff                                 // 000000002900: 7FB402FF 00007FFF
	s_cmp_lt_u32 s57, 2                                        // 000000002908: BF0A8239
	s_cselect_b32 s100, -1, 0                                  // 00000000290C: 856480C1
	s_mov_b32 s0, 0xff00ff00                                   // 000000002910: BE8000FF FF00FF00
	s_mov_b32 s1, 0xff00ff00                                   // 000000002918: BE8100FF FF00FF00
	s_mov_b32 s2, 0xf0f0f0f0                                   // 000000002920: BE8200FF F0F0F0F0
	s_mov_b32 s3, 0xf0f0f0f0                                   // 000000002928: BE8300FF F0F0F0F0
	v_mov_b32_e32 v224, -1                                     // 000000002930: 7FC002C1
	v_mov_b32_dpp v224, v224 row_shl:8 row_mask:0xf bank_mask:0xf bound_ctrl:1// 000000002934: 7FC002FA FF0908E0
	v_mov_b32_e32 v225, 0xff800000                             // 00000000293C: 7FC202FF FF800000
	v_lshrrev_b32_e32 v168, 4, v0                              // 000000002944: 21500084
	v_and_b32_e32 v169, 15, v0                                 // 000000002948: 2752008F
	v_add_u32_e32 v170, 1, v168                                // 00000000294C: 69555081
	v_and_b32_e32 v212, 3, v170                                // 000000002950: 27A95483
	v_lshlrev_b32_e32 v212, 4, v212                            // 000000002954: 25A9A884
	v_add_u32_e32 v212, v169, v212                             // 000000002958: 69A9A9A9
	v_lshlrev_b32_e32 v212, 2, v212                            // 00000000295C: 25A9A882
	v_add_u32_e32 v170, 2, v168                                // 000000002960: 69555082
	v_and_b32_e32 v213, 3, v170                                // 000000002964: 27AB5483
	v_lshlrev_b32_e32 v213, 4, v213                            // 000000002968: 25ABAA84
	v_add_u32_e32 v213, v169, v213                             // 00000000296C: 69ABABA9
	v_lshlrev_b32_e32 v213, 2, v213                            // 000000002970: 25ABAA82
	v_add_u32_e32 v170, 3, v168                                // 000000002974: 69555083
	v_and_b32_e32 v214, 3, v170                                // 000000002978: 27AD5483
	v_lshlrev_b32_e32 v214, 4, v214                            // 00000000297C: 25ADAC84
	v_add_u32_e32 v214, v169, v214                             // 000000002980: 69ADADA9
	v_lshlrev_b32_e32 v214, 2, v214                            // 000000002984: 25ADAC82
	s_waitcnt lgkmcnt(0)                                       // 000000002988: BF8CC07F
	s_lshl_b32 s54, s58, 2                                     // 00000000298C: 8E36823A
	s_and_b32 s37, s37, 0xffff                                 // 000000002990: 8625FF25 0000FFFF
	s_load_dwordx2 s[80:81], s[36:37], s54                     // 000000002998: C0041412 00000036
	s_mul_i32 s54, s53, 0x100                                  // 0000000029A0: 9236FF35 00000100
	s_mul_i32 s67, s48, s54                                    // 0000000029A8: 92433630
	s_mov_b32 s47, s46                                         // 0000000029AC: BEAF002E
	s_mov_b32 s10, 0x80000000                                  // 0000000029B0: BE8A00FF 80000000
	s_mov_b32 s11, 0x20000                                     // 0000000029B8: BE8B00FF 00020000
	s_and_b32 s9, s9, 0xffff                                   // 0000000029C0: 8609FF09 0000FFFF
	s_or_b32 s9, s9, 0                                         // 0000000029C8: 87098009
	s_mov_b32 s84, s8                                          // 0000000029CC: BED40008
	s_mov_b32 s85, s9                                          // 0000000029D0: BED50009
	s_mov_b32 s6, 0x80000000                                   // 0000000029D4: BE8600FF 80000000
	s_mov_b32 s7, 0x20000                                      // 0000000029DC: BE8700FF 00020000
	s_and_b32 s5, s5, 0xffff                                   // 0000000029E4: 8605FF05 0000FFFF
	s_or_b32 s5, s5, 0                                         // 0000000029EC: 87058005
	s_mov_b32 s82, s4                                          // 0000000029F0: BED20004
	s_mov_b32 s83, s5                                          // 0000000029F4: BED30005
	s_mov_b32 s30, 0x80000000                                  // 0000000029F8: BE9E00FF 80000000
	s_mov_b32 s31, 0x20000                                     // 000000002A00: BE9F00FF 00020000
	s_and_b32 s29, s29, 0xffff                                 // 000000002A08: 861DFF1D 0000FFFF
	s_or_b32 s29, s29, 0                                       // 000000002A10: 871D801D
	s_mov_b32 s94, s28                                         // 000000002A14: BEDE001C
	s_mov_b32 s95, s29                                         // 000000002A18: BEDF001D
	s_mov_b32 s34, 0x80000000                                  // 000000002A1C: BEA200FF 80000000
	s_mov_b32 s35, 0x20000                                     // 000000002A24: BEA300FF 00020000
	s_and_b32 s33, s33, 0xffff                                 // 000000002A2C: 8621FF21 0000FFFF
	s_or_b32 s33, s33, 0                                       // 000000002A34: 87218021
	s_mov_b32 s96, s32                                         // 000000002A38: BEE00020
	s_mov_b32 s97, s33                                         // 000000002A3C: BEE10021
	s_mov_b32 s14, 0x80000000                                  // 000000002A40: BE8E00FF 80000000
	s_mov_b32 s15, 0x20000                                     // 000000002A48: BE8F00FF 00020000
	s_and_b32 s13, s13, 0xffff                                 // 000000002A50: 860DFF0D 0000FFFF
	s_or_b32 s13, s13, 0                                       // 000000002A58: 870D800D
	s_mul_i32 s55, s57, 0x100                                  // 000000002A5C: 9237FF39 00000100
	s_add_u32 s86, s12, s55                                    // 000000002A64: 8056370C
	s_addc_u32 s87, s13, 0                                     // 000000002A68: 8257800D
	s_mov_b32 s18, 0x80000000                                  // 000000002A6C: BE9200FF 80000000
	s_mov_b32 s19, 0x20000                                     // 000000002A74: BE9300FF 00020000
	s_and_b32 s17, s17, 0xffff                                 // 000000002A7C: 8611FF11 0000FFFF
	s_or_b32 s17, s17, 0                                       // 000000002A84: 87118011
	s_add_u32 s88, s16, s55                                    // 000000002A88: 80583710
	s_addc_u32 s89, s17, 0                                     // 000000002A8C: 82598011
	s_mov_b32 s22, 0x80000000                                  // 000000002A90: BE9600FF 80000000
	s_mov_b32 s23, 0x20000                                     // 000000002A98: BE9700FF 00020000
	s_and_b32 s21, s21, 0xffff                                 // 000000002AA0: 8615FF15 0000FFFF
	s_or_b32 s21, s21, 0                                       // 000000002AA8: 87158015
	s_mul_i32 s55, s57, 64                                     // 000000002AAC: 9237C039
	s_add_u32 s90, s20, s55                                    // 000000002AB0: 805A3714
	s_addc_u32 s91, s21, 0                                     // 000000002AB4: 825B8015
	s_mov_b32 s26, 0x80000000                                  // 000000002AB8: BE9A00FF 80000000
	s_mov_b32 s27, 0x20000                                     // 000000002AC0: BE9B00FF 00020000
	s_and_b32 s25, s25, 0xffff                                 // 000000002AC8: 8619FF19 0000FFFF
	s_or_b32 s25, s25, 0                                       // 000000002AD0: 87198019
	s_add_u32 s92, s24, s55                                    // 000000002AD4: 805C3718
	s_addc_u32 s93, s25, 0                                     // 000000002AD8: 825D8019
	s_and_b32 s39, s39, 0xffff                                 // 000000002ADC: 8627FF27 0000FFFF
	s_and_b32 s41, s41, 0xffff                                 // 000000002AE4: 8629FF29 0000FFFF
	s_and_b32 s43, s43, 0xffff                                 // 000000002AEC: 862BFF2B 0000FFFF
	s_and_b32 s45, s45, 0xffff                                 // 000000002AF4: 862DFF2D 0000FFFF
	v_and_b32_e32 v180, 15, v0                                 // 000000002AFC: 2768008F
	v_lshlrev_b32_e32 v180, 4, v180                            // 000000002B00: 25696884
	s_lshl_b32 s54, s57, 2                                     // 000000002B04: 8E368239
	v_lshrrev_b32_e32 v172, 4, v0                              // 000000002B08: 21580084
	v_add_u32_e32 v172, s54, v172                              // 000000002B0C: 69595836
	v_add_u32_e32 v173, 16, v172                               // 000000002B10: 695B5890
	v_add_u32_e32 v174, 16, v173                               // 000000002B14: 695D5A90
	v_cvt_f32_u32_e32 v168, s53                                // 000000002B18: 7F500C35
	v_sub_i32 v176, 0, s53                                     // 000000002B1C: D29D00B0 00006A80
	v_rcp_iflag_f32_e32 v168, v168                             // 000000002B24: 7F5047A8
	s_nop 0                                                    // 000000002B28: BF800000
	v_mul_f32_e32 v168, 0x4f7ffffe, v168                       // 000000002B2C: 0B5150FF 4F7FFFFE
	v_cvt_u32_f32_e32 v168, v168                               // 000000002B34: 7F500FA8
	v_mul_lo_u32 v169, v176, v168                              // 000000002B38: D28500A9 000351B0
	v_mul_hi_u32 v169, v168, v169                              // 000000002B40: D28600A9 000353A8
	v_add_u32_e32 v168, v168, v169                             // 000000002B48: 695153A8
	v_mul_hi_u32 v168, v172, v168                              // 000000002B4C: D28600A8 000351AC
	v_mul_lo_u32 v169, v168, s53                               // 000000002B54: D28500A9 00006BA8
	v_sub_u32_e32 v171, v172, v169                             // 000000002B5C: 6B5753AC
	v_add_u32_e32 v170, 1, v168                                // 000000002B60: 69555081
	v_cmp_le_u32_e32 vcc, s53, v171                            // 000000002B64: 7D975635
	v_subrev_u32_e32 v169, s53, v171                           // 000000002B68: 6D535635
	s_nop 0                                                    // 000000002B6C: BF800000
	v_cndmask_b32_e32 v168, v168, v170, vcc                    // 000000002B70: 015155A8
	v_cndmask_b32_e32 v171, v171, v169, vcc                    // 000000002B74: 015753AB
	v_add_u32_e32 v169, 1, v168                                // 000000002B78: 69535081
	v_cmp_le_u32_e32 vcc, s53, v171                            // 000000002B7C: 7D975635
	s_nop 1                                                    // 000000002B80: BF800001
	v_cndmask_b32_e32 v176, v168, v169, vcc                    // 000000002B84: 016153A8
	v_mul_i32_i24_e32 v170, s53, v176                          // 000000002B88: 0D556035
	v_sub_u32_e32 v170, v172, v170                             // 000000002B8C: 6B5555AC
	v_mul_u32_u24_e32 v170, 0x100, v170                        // 000000002B90: 115554FF 00000100
	v_mul_u32_u24_e32 v226, s49, v176                          // 000000002B98: 11C56031
	v_add3_u32 v226, v170, v226, v180                          // 000000002B9C: D1FF00E2 06D3C5AA
	v_mul_u32_u24_e32 v229, s67, v176                          // 000000002BA4: 11CB6043
	v_add3_u32 v229, v170, v229, v180                          // 000000002BA8: D1FF00E5 06D3CBAA
	v_cvt_f32_u32_e32 v168, s53                                // 000000002BB0: 7F500C35
	v_sub_i32 v176, 0, s53                                     // 000000002BB4: D29D00B0 00006A80
	v_rcp_iflag_f32_e32 v168, v168                             // 000000002BBC: 7F5047A8
	s_nop 0                                                    // 000000002BC0: BF800000
	v_mul_f32_e32 v168, 0x4f7ffffe, v168                       // 000000002BC4: 0B5150FF 4F7FFFFE
	v_cvt_u32_f32_e32 v168, v168                               // 000000002BCC: 7F500FA8
	v_mul_lo_u32 v169, v176, v168                              // 000000002BD0: D28500A9 000351B0
	v_mul_hi_u32 v169, v168, v169                              // 000000002BD8: D28600A9 000353A8
	v_add_u32_e32 v168, v168, v169                             // 000000002BE0: 695153A8
	v_mul_hi_u32 v168, v173, v168                              // 000000002BE4: D28600A8 000351AD
	v_mul_lo_u32 v169, v168, s53                               // 000000002BEC: D28500A9 00006BA8
	v_sub_u32_e32 v171, v173, v169                             // 000000002BF4: 6B5753AD
	v_add_u32_e32 v170, 1, v168                                // 000000002BF8: 69555081
	v_cmp_le_u32_e32 vcc, s53, v171                            // 000000002BFC: 7D975635
	v_subrev_u32_e32 v169, s53, v171                           // 000000002C00: 6D535635
	s_nop 0                                                    // 000000002C04: BF800000
	v_cndmask_b32_e32 v168, v168, v170, vcc                    // 000000002C08: 015155A8
	v_cndmask_b32_e32 v171, v171, v169, vcc                    // 000000002C0C: 015753AB
	v_add_u32_e32 v169, 1, v168                                // 000000002C10: 69535081
	v_cmp_le_u32_e32 vcc, s53, v171                            // 000000002C14: 7D975635
	s_nop 1                                                    // 000000002C18: BF800001
	v_cndmask_b32_e32 v176, v168, v169, vcc                    // 000000002C1C: 016153A8
	v_mul_i32_i24_e32 v170, s53, v176                          // 000000002C20: 0D556035
	v_sub_u32_e32 v170, v173, v170                             // 000000002C24: 6B5555AD
	v_mul_u32_u24_e32 v170, 0x100, v170                        // 000000002C28: 115554FF 00000100
	v_mul_u32_u24_e32 v227, s49, v176                          // 000000002C30: 11C76031
	v_add3_u32 v227, v170, v227, v180                          // 000000002C34: D1FF00E3 06D3C7AA
	v_mul_u32_u24_e32 v230, s67, v176                          // 000000002C3C: 11CD6043
	v_add3_u32 v230, v170, v230, v180                          // 000000002C40: D1FF00E6 06D3CDAA
	v_cvt_f32_u32_e32 v168, s53                                // 000000002C48: 7F500C35
	v_sub_i32 v176, 0, s53                                     // 000000002C4C: D29D00B0 00006A80
	v_rcp_iflag_f32_e32 v168, v168                             // 000000002C54: 7F5047A8
	s_nop 0                                                    // 000000002C58: BF800000
	v_mul_f32_e32 v168, 0x4f7ffffe, v168                       // 000000002C5C: 0B5150FF 4F7FFFFE
	v_cvt_u32_f32_e32 v168, v168                               // 000000002C64: 7F500FA8
	v_mul_lo_u32 v169, v176, v168                              // 000000002C68: D28500A9 000351B0
	v_mul_hi_u32 v169, v168, v169                              // 000000002C70: D28600A9 000353A8
	v_add_u32_e32 v168, v168, v169                             // 000000002C78: 695153A8
	v_mul_hi_u32 v168, v174, v168                              // 000000002C7C: D28600A8 000351AE
	v_mul_lo_u32 v169, v168, s53                               // 000000002C84: D28500A9 00006BA8
	v_sub_u32_e32 v171, v174, v169                             // 000000002C8C: 6B5753AE
	v_add_u32_e32 v170, 1, v168                                // 000000002C90: 69555081
	v_cmp_le_u32_e32 vcc, s53, v171                            // 000000002C94: 7D975635
	v_subrev_u32_e32 v169, s53, v171                           // 000000002C98: 6D535635
	s_nop 0                                                    // 000000002C9C: BF800000
	v_cndmask_b32_e32 v168, v168, v170, vcc                    // 000000002CA0: 015155A8
	v_cndmask_b32_e32 v171, v171, v169, vcc                    // 000000002CA4: 015753AB
	v_add_u32_e32 v169, 1, v168                                // 000000002CA8: 69535081
	v_cmp_le_u32_e32 vcc, s53, v171                            // 000000002CAC: 7D975635
	s_nop 1                                                    // 000000002CB0: BF800001
	v_cndmask_b32_e32 v176, v168, v169, vcc                    // 000000002CB4: 016153A8
	v_mul_i32_i24_e32 v170, s53, v176                          // 000000002CB8: 0D556035
	v_sub_u32_e32 v170, v174, v170                             // 000000002CBC: 6B5555AE
	v_mul_u32_u24_e32 v170, 0x100, v170                        // 000000002CC0: 115554FF 00000100
	v_mul_u32_u24_e32 v228, s49, v176                          // 000000002CC8: 11C96031
	v_add3_u32 v228, v170, v228, v180                          // 000000002CCC: D1FF00E4 06D3C9AA
	v_mul_u32_u24_e32 v231, s67, v176                          // 000000002CD4: 11CF6043
	v_add3_u32 v231, v170, v231, v180                          // 000000002CD8: D1FF00E7 06D3CFAA
	s_lshl_b32 s54, s57, 6                                     // 000000002CE0: 8E368639
	v_lshrrev_b32_e32 v180, 4, v0                              // 000000002CE4: 21680084
	v_lshlrev_b32_e32 v180, 4, v180                            // 000000002CE8: 25696884
	v_add_u32_e32 v180, s54, v180                              // 000000002CEC: 69696836
	v_and_b32_e32 v172, 15, v0                                 // 000000002CF0: 2758008F
	v_add_u32_e64 v173, v172, 16                               // 000000002CF4: D13400AD 000121AC
	v_add_u32_e64 v174, v172, 32                               // 000000002CFC: D13400AE 000141AC
	s_mul_i32 s54, s48, s53                                    // 000000002D04: 92363530
	s_lshl_b32 s54, s54, 2                                     // 000000002D08: 8E368236
	s_mul_i32 s55, s54, 0x80                                   // 000000002D0C: 9237FF36 00000080
	v_cvt_f32_u32_e32 v168, s53                                // 000000002D14: 7F500C35
	v_sub_i32 v176, 0, s53                                     // 000000002D18: D29D00B0 00006A80
	v_rcp_iflag_f32_e32 v168, v168                             // 000000002D20: 7F5047A8
	s_nop 0                                                    // 000000002D24: BF800000
	v_mul_f32_e32 v168, 0x4f7ffffe, v168                       // 000000002D28: 0B5150FF 4F7FFFFE
	v_cvt_u32_f32_e32 v168, v168                               // 000000002D30: 7F500FA8
	v_mul_lo_u32 v169, v176, v168                              // 000000002D34: D28500A9 000351B0
	v_mul_hi_u32 v169, v168, v169                              // 000000002D3C: D28600A9 000353A8
	v_add_u32_e32 v168, v168, v169                             // 000000002D44: 695153A8
	v_mul_hi_u32 v168, v172, v168                              // 000000002D48: D28600A8 000351AC
	v_mul_lo_u32 v169, v168, s53                               // 000000002D50: D28500A9 00006BA8
	v_sub_u32_e32 v171, v172, v169                             // 000000002D58: 6B5753AC
	v_add_u32_e32 v170, 1, v168                                // 000000002D5C: 69555081
	v_cmp_le_u32_e32 vcc, s53, v171                            // 000000002D60: 7D975635
	v_subrev_u32_e32 v169, s53, v171                           // 000000002D64: 6D535635
	s_nop 0                                                    // 000000002D68: BF800000
	v_cndmask_b32_e32 v168, v168, v170, vcc                    // 000000002D6C: 015155A8
	v_cndmask_b32_e32 v171, v171, v169, vcc                    // 000000002D70: 015753AB
	v_add_u32_e32 v169, 1, v168                                // 000000002D74: 69535081
	v_cmp_le_u32_e32 vcc, s53, v171                            // 000000002D78: 7D975635
	s_nop 1                                                    // 000000002D7C: BF800001
	v_cndmask_b32_e32 v176, v168, v169, vcc                    // 000000002D80: 016153A8
	v_mul_i32_i24_e32 v170, s53, v176                          // 000000002D84: 0D556035
	v_sub_u32_e32 v170, v172, v170                             // 000000002D88: 6B5555AC
	v_lshlrev_b32_e32 v171, 2, v170                            // 000000002D8C: 25575482
	v_mul_u32_u24_e32 v240, s54, v176                          // 000000002D90: 11E16036
	v_add_u32_e32 v240, v171, v240                             // 000000002D94: 69E1E1AB
	v_mul_u32_u24_e32 v171, 0x200, v170                        // 000000002D98: 115754FF 00000200
	v_mul_u32_u24_e32 v243, s55, v176                          // 000000002DA0: 11E76037
	v_add3_u32 v243, v171, v243, v180                          // 000000002DA4: D1FF00F3 06D3E7AB
	v_cvt_f32_u32_e32 v168, s53                                // 000000002DAC: 7F500C35
	v_sub_i32 v176, 0, s53                                     // 000000002DB0: D29D00B0 00006A80
	v_rcp_iflag_f32_e32 v168, v168                             // 000000002DB8: 7F5047A8
	s_nop 0                                                    // 000000002DBC: BF800000
	v_mul_f32_e32 v168, 0x4f7ffffe, v168                       // 000000002DC0: 0B5150FF 4F7FFFFE
	v_cvt_u32_f32_e32 v168, v168                               // 000000002DC8: 7F500FA8
	v_mul_lo_u32 v169, v176, v168                              // 000000002DCC: D28500A9 000351B0
	v_mul_hi_u32 v169, v168, v169                              // 000000002DD4: D28600A9 000353A8
	v_add_u32_e32 v168, v168, v169                             // 000000002DDC: 695153A8
	v_mul_hi_u32 v168, v173, v168                              // 000000002DE0: D28600A8 000351AD
	v_mul_lo_u32 v169, v168, s53                               // 000000002DE8: D28500A9 00006BA8
	v_sub_u32_e32 v171, v173, v169                             // 000000002DF0: 6B5753AD
	v_add_u32_e32 v170, 1, v168                                // 000000002DF4: 69555081
	v_cmp_le_u32_e32 vcc, s53, v171                            // 000000002DF8: 7D975635
	v_subrev_u32_e32 v169, s53, v171                           // 000000002DFC: 6D535635
	s_nop 0                                                    // 000000002E00: BF800000
	v_cndmask_b32_e32 v168, v168, v170, vcc                    // 000000002E04: 015155A8
	v_cndmask_b32_e32 v171, v171, v169, vcc                    // 000000002E08: 015753AB
	v_add_u32_e32 v169, 1, v168                                // 000000002E0C: 69535081
	v_cmp_le_u32_e32 vcc, s53, v171                            // 000000002E10: 7D975635
	s_nop 1                                                    // 000000002E14: BF800001
	v_cndmask_b32_e32 v176, v168, v169, vcc                    // 000000002E18: 016153A8
	v_mul_i32_i24_e32 v170, s53, v176                          // 000000002E1C: 0D556035
	v_sub_u32_e32 v170, v173, v170                             // 000000002E20: 6B5555AD
	v_lshlrev_b32_e32 v171, 2, v170                            // 000000002E24: 25575482
	v_mul_u32_u24_e32 v241, s54, v176                          // 000000002E28: 11E36036
	v_add_u32_e32 v241, v171, v241                             // 000000002E2C: 69E3E3AB
	v_mul_u32_u24_e32 v171, 0x200, v170                        // 000000002E30: 115754FF 00000200
	v_mul_u32_u24_e32 v244, s55, v176                          // 000000002E38: 11E96037
	v_add3_u32 v244, v171, v244, v180                          // 000000002E3C: D1FF00F4 06D3E9AB
	v_cvt_f32_u32_e32 v168, s53                                // 000000002E44: 7F500C35
	v_sub_i32 v176, 0, s53                                     // 000000002E48: D29D00B0 00006A80
	v_rcp_iflag_f32_e32 v168, v168                             // 000000002E50: 7F5047A8
	s_nop 0                                                    // 000000002E54: BF800000
	v_mul_f32_e32 v168, 0x4f7ffffe, v168                       // 000000002E58: 0B5150FF 4F7FFFFE
	v_cvt_u32_f32_e32 v168, v168                               // 000000002E60: 7F500FA8
	v_mul_lo_u32 v169, v176, v168                              // 000000002E64: D28500A9 000351B0
	v_mul_hi_u32 v169, v168, v169                              // 000000002E6C: D28600A9 000353A8
	v_add_u32_e32 v168, v168, v169                             // 000000002E74: 695153A8
	v_mul_hi_u32 v168, v174, v168                              // 000000002E78: D28600A8 000351AE
	v_mul_lo_u32 v169, v168, s53                               // 000000002E80: D28500A9 00006BA8
	v_sub_u32_e32 v171, v174, v169                             // 000000002E88: 6B5753AE
	v_add_u32_e32 v170, 1, v168                                // 000000002E8C: 69555081
	v_cmp_le_u32_e32 vcc, s53, v171                            // 000000002E90: 7D975635
	v_subrev_u32_e32 v169, s53, v171                           // 000000002E94: 6D535635
	s_nop 0                                                    // 000000002E98: BF800000
	v_cndmask_b32_e32 v168, v168, v170, vcc                    // 000000002E9C: 015155A8
	v_cndmask_b32_e32 v171, v171, v169, vcc                    // 000000002EA0: 015753AB
	v_add_u32_e32 v169, 1, v168                                // 000000002EA4: 69535081
	v_cmp_le_u32_e32 vcc, s53, v171                            // 000000002EA8: 7D975635
	s_nop 1                                                    // 000000002EAC: BF800001
	v_cndmask_b32_e32 v176, v168, v169, vcc                    // 000000002EB0: 016153A8
	v_mul_i32_i24_e32 v170, s53, v176                          // 000000002EB4: 0D556035
	v_sub_u32_e32 v170, v174, v170                             // 000000002EB8: 6B5555AE
	v_lshlrev_b32_e32 v171, 2, v170                            // 000000002EBC: 25575482
	v_mul_u32_u24_e32 v242, s54, v176                          // 000000002EC0: 11E56036
	v_add_u32_e32 v242, v171, v242                             // 000000002EC4: 69E5E5AB
	v_mul_u32_u24_e32 v171, 0x200, v170                        // 000000002EC8: 115754FF 00000200
	v_mul_u32_u24_e32 v245, s55, v176                          // 000000002ED0: 11EB6037
	v_add3_u32 v245, v171, v245, v180                          // 000000002ED4: D1FF00F5 06D3EBAB
	s_mul_i32 s54, s57, 64                                     // 000000002EDC: 9236C039
	v_and_b32_e32 v168, 15, v0                                 // 000000002EE0: 2750008F
	v_mul_i32_i24_e32 v168, 0x100, v168                        // 000000002EE4: 0D5150FF 00000100
	v_lshrrev_b32_e32 v169, 4, v0                              // 000000002EEC: 21520084
	v_mul_i32_i24_e32 v169, 16, v169                           // 000000002EF0: 0D535290
	v_add3_u32 v246, v168, v169, s54                           // 000000002EF4: D1FF00F6 00DB53A8
	v_and_b32_e32 v248, 15, v0                                 // 000000002EFC: 27F0008F
	v_mul_i32_i24_e32 v248, 16, v248                           // 000000002F00: 0DF1F090
	s_mul_i32 s54, s57, 0x240                                  // 000000002F04: 9236FF39 00000240
	v_lshrrev_b32_e32 v168, 4, v0                              // 000000002F0C: 21500084
	v_lshlrev_b32_e32 v168, 7, v168                            // 000000002F10: 25515087
	v_lshrrev_b32_e32 v169, 5, v0                              // 000000002F14: 21520085
	v_lshlrev_b32_e32 v169, 5, v169                            // 000000002F18: 25535285
	v_and_b32_e32 v170, 15, v0                                 // 000000002F1C: 2754008F
	v_lshlrev_b32_e32 v170, 3, v170                            // 000000002F20: 25555483
	v_add3_u32 v168, v168, v169, v170                          // 000000002F24: D1FF00A8 06AB53A8
	v_add_u32_e32 v247, s54, v168                              // 000000002F2C: 69EF5036
	v_and_b32_e32 v168, 15, v0                                 // 000000002F30: 2750008F
	v_lshlrev_b32_e32 v169, 7, v168                            // 000000002F34: 25535087
	v_lshrrev_b32_e32 v168, 1, v168                            // 000000002F38: 21515081
	v_lshlrev_b32_e32 v168, 5, v168                            // 000000002F3C: 25515085
	v_lshrrev_b32_e32 v170, 4, v0                              // 000000002F40: 21540084
	v_lshlrev_b32_e32 v170, 4, v170                            // 000000002F44: 25555484
	v_add3_u32 v249, v168, v169, v170                          // 000000002F48: D1FF00F9 06AB53A8
	s_mul_i32 s54, s57, 0x240                                  // 000000002F50: 9236FF39 00000240
	v_lshrrev_b32_e32 v168, 5, v0                              // 000000002F58: 21500085
	v_mul_i32_i24_e32 v168, 0x120, v168                        // 000000002F5C: 0D5150FF 00000120
	v_lshrrev_b32_e32 v169, 4, v0                              // 000000002F64: 21520084
	v_and_b32_e32 v169, 1, v169                                // 000000002F68: 27535281
	v_lshlrev_b32_e32 v169, 3, v169                            // 000000002F6C: 25535283
	v_and_b32_e32 v170, 15, v0                                 // 000000002F70: 2754008F
	v_lshlrev_b32_e32 v170, 4, v170                            // 000000002F74: 25555484
	v_add3_u32 v250, v168, v169, v170                          // 000000002F78: D1FF00FA 06AB53A8
	v_add_u32_e32 v250, s54, v250                              // 000000002F80: 69F5F436
	s_lshl_b32 s54, s57, 6                                     // 000000002F84: 8E368639
	v_lshrrev_b32_e32 v168, 4, v0                              // 000000002F88: 21500084
	v_lshlrev_b32_e32 v168, 4, v168                            // 000000002F8C: 25515084
	v_and_b32_e32 v169, 15, v0                                 // 000000002F90: 2752008F
	v_mul_i32_i24_e32 v169, 0x120, v169                        // 000000002F94: 0D5352FF 00000120
	v_add3_u32 v251, v168, v169, s54                           // 000000002F9C: D1FF00FB 00DB53A8
	v_lshrrev_b32_e32 v168, 4, v0                              // 000000002FA4: 21500084
	v_and_b32_e32 v169, 15, v0                                 // 000000002FA8: 2752008F
	v_lshlrev_b32_e32 v170, 4, v169                            // 000000002FAC: 25555284
	v_mul_i32_i24_e32 v232, 0x4000, v168                       // 000000002FB0: 0DD150FF 00004000
	v_add_u32_e32 v232, v170, v232                             // 000000002FB8: 69D1D1AA
	v_add_u32_e32 v233, 0x10000, v232                          // 000000002FBC: 69D3D0FF 00010000
	v_mul_i32_i24_e32 v234, 0x800, v168                        // 000000002FC4: 0DD550FF 00000800
	v_add_u32_e32 v234, v170, v234                             // 000000002FCC: 69D5D5AA
	v_add_u32_e32 v235, 0x2000, v234                           // 000000002FD0: 69D7D4FF 00002000
	v_add_u32_e32 v236, 0x2000, v235                           // 000000002FD8: 69D9D6FF 00002000
	v_add_u32_e32 v237, 0x2000, v236                           // 000000002FE0: 69DBD8FF 00002000
	v_lshlrev_b32_e32 v168, 2, v168                            // 000000002FE8: 25515082
	v_lshrrev_b32_e32 v169, 2, v169                            // 000000002FEC: 21535282
	v_lshlrev_b32_e32 v169, 6, v169                            // 000000002FF0: 25535286
	v_and_b32_e32 v170, 3, v0                                  // 000000002FF4: 27540083
	v_add3_u32 v168, v168, v169, v170                          // 000000002FF8: D1FF00A8 06AB53A8
	v_lshlrev_b32_e32 v238, 2, v168                            // 000000003000: 25DD5082
	v_mov_b32_e32 v239, v238                                   // 000000003004: 7FDE03EE
	s_lshl_b32 s54, s57, 4                                     // 000000003008: 8E368439
	v_lshrrev_b32_e32 v222, 4, v0                              // 00000000300C: 21BC0084
	v_lshlrev_b32_e32 v222, 2, v222                            // 000000003010: 25BDBC82
	v_add_u32_e32 v222, s54, v222                              // 000000003014: 69BDBC36
	v_add_u32_e32 v168, 0x80, v222                             // 000000003018: 6951BCFF 00000080
	v_cndmask_b32_e64 v223, v222, v168, s[0:1]                 // 000000003020: D10000DF 000351DE
	s_lshl_b32 s54, s57, 6                                     // 000000003028: 8E368639
	v_lshrrev_b32_e32 v168, 4, v0                              // 00000000302C: 21500084
	v_lshlrev_b32_e32 v168, 8, v168                            // 000000003030: 25515088
	v_and_b32_e32 v169, 15, v0                                 // 000000003034: 2752008F
	v_lshlrev_b32_e32 v169, 2, v169                            // 000000003038: 25535282
	v_add3_u32 v252, s54, v168, v169                           // 00000000303C: D1FF00FC 06A75036
	v_lshlrev_b32_e32 v252, 2, v252                            // 000000003044: 25F9F882
	v_and_b32_e32 v253, 15, v0                                 // 000000003048: 27FA008F
	v_lshlrev_b32_e32 v253, 4, v253                            // 00000000304C: 25FBFA84
	s_lshl_b32 s54, s57, 8                                     // 000000003050: 8E368839
	v_and_b32_e32 v169, 15, v0                                 // 000000003054: 2752008F
	v_lshlrev_b32_e32 v169, 4, v169                            // 000000003058: 25535284
	v_lshrrev_b32_e32 v170, 4, v0                              // 00000000305C: 21540084
	v_lshlrev_b32_e32 v170, 2, v170                            // 000000003060: 25555482
	v_add3_u32 v254, v169, v170, s54                           // 000000003064: D1FF00FE 00DB55A9
	v_and_b32_e32 v168, 15, v0                                 // 00000000306C: 2750008F
	v_lshlrev_b32_e32 v168, 4, v168                            // 000000003070: 25515084
	v_lshrrev_b32_e32 v169, 4, v0                              // 000000003074: 21520084
	v_lshlrev_b32_e32 v169, 8, v169                            // 000000003078: 25535288
	v_add_u32_e32 v255, v168, v169                             // 00000000307C: 69FF53A8
	s_waitcnt lgkmcnt(0)                                       // 000000003080: BF8CC07F

0000000000003084 <label_0221>:
	s_cmp_lt_i32 s80, s81                                      // 000000003084: BF045150
	s_cbranch_scc0 label_45AD                                  // 000000003088: BF84438A
	s_lshl_b32 s54, s80, 5                                     // 00000000308C: 8E368550
	s_load_dwordx8 s[72:79], s[38:39], s54                     // 000000003090: C00C1213 00000036
	v_mov_b32_e32 v194, 0xff7fffff                             // 000000003098: 7F8402FF FF7FFFFF
	v_mov_b64_e32 v[200:201], 0                                // 0000000030A0: 7F907080
	v_mov_b64_e32 v[206:207], 0                                // 0000000030A4: 7F9C7080
	v_mov_b64_e32 v[158:159], 0                                // 0000000030A8: 7F3C7080
	v_mov_b32_e32 v195, 0xff7fffff                             // 0000000030AC: 7F8602FF FF7FFFFF
	v_mov_b64_e32 v[202:203], 0                                // 0000000030B4: 7F947080
	v_mov_b64_e32 v[208:209], 0                                // 0000000030B8: 7FA07080
	v_mov_b64_e32 v[160:161], 0                                // 0000000030BC: 7F407080
	v_mov_b32_e32 v196, 0xff7fffff                             // 0000000030C0: 7F8802FF FF7FFFFF
	v_mov_b64_e32 v[204:205], 0                                // 0000000030C8: 7F987080
	v_mov_b64_e32 v[210:211], 0                                // 0000000030CC: 7FA47080
	v_mov_b64_e32 v[162:163], 0                                // 0000000030D0: 7F447080
	v_mov_b32_e32 v124, 0                                      // 0000000030D4: 7EF80280
	v_mov_b32_e32 v100, 0                                      // 0000000030D8: 7EC80280
	v_mov_b32_e32 v125, 0                                      // 0000000030DC: 7EFA0280
	v_mov_b32_e32 v101, 0                                      // 0000000030E0: 7ECA0280
	v_mov_b32_e32 v126, 0                                      // 0000000030E4: 7EFC0280
	v_mov_b32_e32 v102, 0                                      // 0000000030E8: 7ECC0280
	v_mov_b32_e32 v127, 0                                      // 0000000030EC: 7EFE0280
	v_mov_b32_e32 v103, 0                                      // 0000000030F0: 7ECE0280
	v_mov_b32_e32 v128, 0                                      // 0000000030F4: 7F000280
	v_mov_b32_e32 v104, 0                                      // 0000000030F8: 7ED00280
	v_mov_b32_e32 v129, 0                                      // 0000000030FC: 7F020280
	v_mov_b32_e32 v105, 0                                      // 000000003100: 7ED20280
	v_mov_b32_e32 v130, 0                                      // 000000003104: 7F040280
	v_mov_b32_e32 v106, 0                                      // 000000003108: 7ED40280
	v_mov_b32_e32 v131, 0                                      // 00000000310C: 7F060280
	v_mov_b32_e32 v107, 0                                      // 000000003110: 7ED60280
	v_mov_b32_e32 v132, 0                                      // 000000003114: 7F080280
	v_mov_b32_e32 v108, 0                                      // 000000003118: 7ED80280
	v_mov_b32_e32 v133, 0                                      // 00000000311C: 7F0A0280
	v_mov_b32_e32 v109, 0                                      // 000000003120: 7EDA0280
	v_mov_b32_e32 v134, 0                                      // 000000003124: 7F0C0280
	v_mov_b32_e32 v110, 0                                      // 000000003128: 7EDC0280
	v_mov_b32_e32 v135, 0                                      // 00000000312C: 7F0E0280
	v_mov_b32_e32 v111, 0                                      // 000000003130: 7EDE0280
	v_mov_b32_e32 v136, 0                                      // 000000003134: 7F100280
	v_mov_b32_e32 v112, 0                                      // 000000003138: 7EE00280
	v_mov_b32_e32 v137, 0                                      // 00000000313C: 7F120280
	v_mov_b32_e32 v113, 0                                      // 000000003140: 7EE20280
	v_mov_b32_e32 v138, 0                                      // 000000003144: 7F140280
	v_mov_b32_e32 v114, 0                                      // 000000003148: 7EE40280
	v_mov_b32_e32 v139, 0                                      // 00000000314C: 7F160280
	v_mov_b32_e32 v115, 0                                      // 000000003150: 7EE60280
	v_mov_b32_e32 v140, 0                                      // 000000003154: 7F180280
	v_mov_b32_e32 v116, 0                                      // 000000003158: 7EE80280
	v_mov_b32_e32 v141, 0                                      // 00000000315C: 7F1A0280
	v_mov_b32_e32 v117, 0                                      // 000000003160: 7EEA0280
	v_mov_b32_e32 v142, 0                                      // 000000003164: 7F1C0280
	v_mov_b32_e32 v118, 0                                      // 000000003168: 7EEC0280
	v_mov_b32_e32 v143, 0                                      // 00000000316C: 7F1E0280
	v_mov_b32_e32 v119, 0                                      // 000000003170: 7EEE0280
	v_mov_b32_e32 v144, 0                                      // 000000003174: 7F200280
	v_mov_b32_e32 v120, 0                                      // 000000003178: 7EF00280
	v_mov_b32_e32 v145, 0                                      // 00000000317C: 7F220280
	v_mov_b32_e32 v121, 0                                      // 000000003180: 7EF20280
	v_mov_b32_e32 v146, 0                                      // 000000003184: 7F240280
	v_mov_b32_e32 v122, 0                                      // 000000003188: 7EF40280
	v_mov_b32_e32 v147, 0                                      // 00000000318C: 7F260280
	v_mov_b32_e32 v123, 0                                      // 000000003190: 7EF60280
	s_waitcnt lgkmcnt(0)                                       // 000000003194: BF8CC07F
	s_mul_i32 s64, s76, 0x400                                  // 000000003198: 9240FF4C 00000400
	s_lshl_b32 s54, s72, 2                                     // 0000000031A0: 8E368248
	s_load_dword s60, s[44:45], s54                            // 0000000031A4: C0000F16 00000036
	s_load_dword s61, s[40:41], s54                            // 0000000031AC: C0000F54 00000036
	s_lshl_b32 s68, s76, 2                                     // 0000000031B4: 8E44824C
	s_cmp_lt_u32 s76, s77                                      // 0000000031B8: BF0A4D4C
	s_cselect_b32 s68, s68, 0                                  // 0000000031BC: 85448044
	s_addk_i32 s76, 0x1                                        // 0000000031C0: B74C0001
	s_load_dword s59, s[42:43], s68                            // 0000000031C4: C0000ED5 00000044
	s_and_b32 s79, s79, 0xffff                                 // 0000000031CC: 864FFF4F 0000FFFF
	v_cvt_f32_u32_e32 v168, s53                                // 0000000031D4: 7F500C35
	s_sub_i32 s78, 0, s53                                      // 0000000031D8: 81CE3580
	v_rcp_iflag_f32_e32 v168, v168                             // 0000000031DC: 7F5047A8
	s_nop 0                                                    // 0000000031E0: BF800000
	v_mul_f32_e32 v168, 0x4f7ffffe, v168                       // 0000000031E4: 0B5150FF 4F7FFFFE
	v_cvt_u32_f32_e32 v168, v168                               // 0000000031EC: 7F500FA8
	v_mul_lo_u32 v169, s78, v168                               // 0000000031F0: D28500A9 0003504E
	v_mul_hi_u32 v169, v168, v169                              // 0000000031F8: D28600A9 000353A8
	v_add_u32_e32 v168, v168, v169                             // 000000003200: 695153A8
	v_mul_hi_u32 v168, s79, v168                               // 000000003204: D28600A8 0003504F
	v_mul_lo_u32 v169, v168, s53                               // 00000000320C: D28500A9 00006BA8
	v_sub_u32_e32 v171, s79, v169                              // 000000003214: 6B57524F
	v_add_u32_e32 v170, 1, v168                                // 000000003218: 69555081
	v_cmp_le_u32_e32 vcc, s53, v171                            // 00000000321C: 7D975635
	v_subrev_u32_e32 v169, s53, v171                           // 000000003220: 6D535635
	s_nop 0                                                    // 000000003224: BF800000
	v_cndmask_b32_e32 v168, v168, v170, vcc                    // 000000003228: 015155A8
	v_cndmask_b32_e32 v171, v171, v169, vcc                    // 00000000322C: 015753AB
	v_add_u32_e32 v169, 1, v168                                // 000000003230: 69535081
	v_cmp_le_u32_e32 vcc, s53, v171                            // 000000003234: 7D975635
	s_nop 1                                                    // 000000003238: BF800001
	v_cndmask_b32_e32 v171, v168, v169, vcc                    // 00000000323C: 015753A8
	s_nop 3                                                    // 000000003240: BF800003
	v_readfirstlane_b32 s78, v171                              // 000000003244: 7E9C05AB
	s_nop 3                                                    // 000000003248: BF800003
	s_mul_i32 s65, s53, 0x100                                  // 00000000324C: 9241FF35 00000100
	s_add_u32 s54, s52, 1                                      // 000000003254: 80368134
	s_mul_i32 s54, s49, s54                                    // 000000003258: 92363631
	s_mul_i32 s54, s72, s54                                    // 00000000325C: 92363648
	s_mul_i32 s55, s78, s65                                    // 000000003260: 9237414E
	s_add_u32 s54, s54, s55                                    // 000000003264: 80363736
	s_add_u32 s8, s84, s54                                     // 000000003268: 80083654
	s_addc_u32 s9, s85, 0                                      // 00000000326C: 82098055
	s_mul_i32 s54, s52, s49                                    // 000000003270: 92363134
	s_add_u32 s10, s54, s65                                    // 000000003274: 800A4136
	s_add_u32 s54, s52, 1                                      // 000000003278: 80368134
	s_mul_i32 s54, s54, s67                                    // 00000000327C: 92364336
	s_mul_i32 s54, s54, s72                                    // 000000003280: 92364836
	s_mul_i32 s55, s78, s65                                    // 000000003284: 9237414E
	s_add_u32 s54, s54, s55                                    // 000000003288: 80363736
	s_add_u32 s4, s82, s54                                     // 00000000328C: 80043652
	s_addc_u32 s5, s83, 0                                      // 000000003290: 82058053
	s_mul_i32 s54, s52, s67                                    // 000000003294: 92364334
	s_add_u32 s6, s54, s65                                     // 000000003298: 80064136
	s_mul_i32 s55, s53, 0x200                                  // 00000000329C: 9237FF35 00000200
	s_mul_i32 s54, s73, s48                                    // 0000000032A4: 92363049
	s_add_u32 s54, s54, s78                                    // 0000000032A8: 80364E36
	s_mul_i32 s54, s54, s55                                    // 0000000032AC: 92363736
	s_add_u32 s28, s94, s54                                    // 0000000032B0: 801C365E
	s_addc_u32 s29, s95, 0                                     // 0000000032B4: 821D805F
	s_add_u32 s54, s52, 1                                      // 0000000032B8: 80368134
	s_mul_i32 s54, s54, s48                                    // 0000000032BC: 92363036
	s_mul_i32 s30, s54, s55                                    // 0000000032C0: 921E3736
	s_mul_i32 s55, s53, 4                                      // 0000000032C4: 92378435
	s_mul_i32 s54, s73, s48                                    // 0000000032C8: 92363049
	s_add_u32 s54, s54, s78                                    // 0000000032CC: 80364E36
	s_mul_i32 s54, s54, s55                                    // 0000000032D0: 92363736
	s_add_u32 s32, s96, s54                                    // 0000000032D4: 80203660
	s_addc_u32 s33, s97, 0                                     // 0000000032D8: 82218061
	s_add_u32 s54, s52, 1                                      // 0000000032DC: 80368134
	s_mul_i32 s54, s54, s48                                    // 0000000032E0: 92363036
	s_mul_i32 s34, s54, s55                                    // 0000000032E4: 92223736
	buffer_load_dwordx4 v[4:7], v226, s[8:11], 0 offen         // 0000000032E8: E05C1000 800204E2
	buffer_load_dwordx4 v[8:11], v227, s[8:11], 0 offen        // 0000000032F0: E05C1000 800208E3
	buffer_load_dwordx4 v[12:15], v228, s[8:11], 0 offen       // 0000000032F8: E05C1000 80020CE4
	s_waitcnt lgkmcnt(0)                                       // 000000003300: BF8CC07F
	s_mul_i32 s54, s60, 0x400                                  // 000000003304: 9236FF3C 00000400
	s_sub_i32 s64, s64, s54                                    // 00000000330C: 81C03640
	s_mul_i32 s69, s59, s50                                    // 000000003310: 9245323B
	s_mul_i32 s71, s59, s66                                    // 000000003314: 9247423B
	s_mul_i32 s54, s78, s51                                    // 000000003318: 9236334E
	s_add_u32 s69, s69, s54                                    // 00000000331C: 80453645
	s_mov_b32 s70, s69                                         // 000000003320: BEC60045
	s_mul_i32 s54, s78, s101                                   // 000000003324: 9236654E
	s_add_u32 s71, s71, s54                                    // 000000003328: 80473647
	s_add_u32 s12, s86, s69                                    // 00000000332C: 800C4556
	s_addc_u32 s13, s87, 0                                     // 000000003330: 820D8057
	s_add_u32 s16, s88, s70                                    // 000000003334: 80104658
	s_addc_u32 s17, s89, 0                                     // 000000003338: 82118059
	s_add_u32 s20, s90, s71                                    // 00000000333C: 8014475A
	s_addc_u32 s21, s91, 0                                     // 000000003340: 8215805B
	s_add_u32 s24, s92, s71                                    // 000000003344: 8018475C
	s_addc_u32 s25, s93, 0                                     // 000000003348: 8219805D
	s_add_u32 s69, s69, 0x1000                                 // 00000000334C: 8045FF45 00001000
	s_add_u32 s70, s70, 0x8000                                 // 000000003354: 8046FF46 00008000
	s_add_u32 s71, s71, 0x400                                  // 00000000335C: 8047FF47 00000400
	buffer_load_dwordx4 a[24:27], v232, s[12:15], 0 offen      // 000000003364: E05C1000 808318E8
	buffer_load_dwordx4 a[28:31], v233, s[12:15], 0 offen      // 00000000336C: E05C1000 80831CE9
	buffer_load_dwordx4 a[32:35], v232, s[12:15], 0 offen offset:1024// 000000003374: E05C1400 808320E8
	buffer_load_dwordx4 a[36:39], v233, s[12:15], 0 offen offset:1024// 00000000337C: E05C1400 808324E9
	buffer_load_dwordx4 a[40:43], v232, s[12:15], 0 offen offset:2048// 000000003384: E05C1800 808328E8
	buffer_load_dwordx4 a[44:47], v233, s[12:15], 0 offen offset:2048// 00000000338C: E05C1800 80832CE9
	buffer_load_dwordx4 a[48:51], v232, s[12:15], 0 offen offset:3072// 000000003394: E05C1C00 808330E8
	buffer_load_dwordx4 a[52:55], v233, s[12:15], 0 offen offset:3072// 00000000339C: E05C1C00 808334E9
	buffer_load_dword v154, v238, s[20:23], 0 offen            // 0000000033A4: E0501000 80059AEE
	buffer_load_dword v156, v239, s[24:27], 0 offen            // 0000000033AC: E0501000 80069CEF
	buffer_load_dwordx4 a[88:91], v234, s[16:19], 0 offen      // 0000000033B4: E05C1000 808458EA
	buffer_load_dwordx4 a[92:95], v235, s[16:19], 0 offen      // 0000000033BC: E05C1000 80845CEB
	buffer_load_dwordx4 a[96:99], v236, s[16:19], 0 offen      // 0000000033C4: E05C1000 808460EC
	buffer_load_dwordx4 a[100:103], v237, s[16:19], 0 offen    // 0000000033CC: E05C1000 808464ED
	buffer_load_dwordx4 a[104:107], v234, s[16:19], 0 offen offset:1024// 0000000033D4: E05C1400 808468EA
	buffer_load_dwordx4 a[108:111], v235, s[16:19], 0 offen offset:1024// 0000000033DC: E05C1400 80846CEB
	buffer_load_dwordx4 a[112:115], v236, s[16:19], 0 offen offset:1024// 0000000033E4: E05C1400 808470EC
	buffer_load_dwordx4 a[116:119], v237, s[16:19], 0 offen offset:1024// 0000000033EC: E05C1400 808474ED
	s_sub_i32 s54, s77, s60                                    // 0000000033F4: 81B63C4D
	s_mul_i32 s62, s54, 0x400                                  // 0000000033F8: 923EFF36 00000400
	s_cmp_lt_i32 s62, s61                                      // 000000003400: BF043D3E
	s_cselect_b32 s62, s62, s61                                // 000000003404: 853E3D3E
	s_sub_i32 s54, s61, s52                                    // 000000003408: 81B6343D
	v_and_b32_e32 v172, 15, v0                                 // 00000000340C: 2758008F
	v_add_u32_e32 v173, 16, v172                               // 000000003410: 695B5890
	v_and_b32_e32 v174, 7, v0                                  // 000000003414: 275C0087
	v_add_u32_e32 v174, 32, v174                               // 000000003418: 695D5CA0
	s_cmp_lt_i32 s62, s54                                      // 00000000341C: BF04363E
	s_cselect_b32 s63, s62, s54                                // 000000003420: 853F363E
	s_and_b32 s63, s63, 0xffffff00                             // 000000003424: 863FFF3F FFFFFF00
	v_cvt_f32_u32_e32 v168, s53                                // 00000000342C: 7F500C35
	v_sub_i32 v176, 0, s53                                     // 000000003430: D29D00B0 00006A80
	v_rcp_iflag_f32_e32 v168, v168                             // 000000003438: 7F5047A8
	s_nop 0                                                    // 00000000343C: BF800000
	v_mul_f32_e32 v168, 0x4f7ffffe, v168                       // 000000003440: 0B5150FF 4F7FFFFE
	v_cvt_u32_f32_e32 v168, v168                               // 000000003448: 7F500FA8
	v_mul_lo_u32 v169, v176, v168                              // 00000000344C: D28500A9 000351B0
	v_mul_hi_u32 v169, v168, v169                              // 000000003454: D28600A9 000353A8
	v_add_u32_e32 v168, v168, v169                             // 00000000345C: 695153A8
	v_mul_hi_u32 v168, v172, v168                              // 000000003460: D28600A8 000351AC
	v_mul_lo_u32 v169, v168, s53                               // 000000003468: D28500A9 00006BA8
	v_sub_u32_e32 v171, v172, v169                             // 000000003470: 6B5753AC
	v_add_u32_e32 v170, 1, v168                                // 000000003474: 69555081
	v_cmp_le_u32_e32 vcc, s53, v171                            // 000000003478: 7D975635
	v_subrev_u32_e32 v169, s53, v171                           // 00000000347C: 6D535635
	s_nop 0                                                    // 000000003480: BF800000
	v_cndmask_b32_e32 v168, v168, v170, vcc                    // 000000003484: 015155A8
	v_cndmask_b32_e32 v171, v171, v169, vcc                    // 000000003488: 015753AB
	v_add_u32_e32 v169, 1, v168                                // 00000000348C: 69535081
	v_cmp_le_u32_e32 vcc, s53, v171                            // 000000003490: 7D975635
	s_nop 1                                                    // 000000003494: BF800001
	v_cndmask_b32_e32 v176, v168, v169, vcc                    // 000000003498: 016153A8
	v_add_u32_e32 v219, s54, v176                              // 00000000349C: 69B76036
	v_cmp_lt_u32_e32 vcc, s62, v219                            // 0000000034A0: 7D93B63E
	v_mov_b32_e32 v169, s62                                    // 0000000034A4: 7F52023E
	v_cndmask_b32_e32 v219, v219, v169, vcc                    // 0000000034A8: 01B753DB
	v_cvt_f32_u32_e32 v168, s53                                // 0000000034AC: 7F500C35
	v_sub_i32 v176, 0, s53                                     // 0000000034B0: D29D00B0 00006A80
	v_rcp_iflag_f32_e32 v168, v168                             // 0000000034B8: 7F5047A8
	s_nop 0                                                    // 0000000034BC: BF800000
	v_mul_f32_e32 v168, 0x4f7ffffe, v168                       // 0000000034C0: 0B5150FF 4F7FFFFE
	v_cvt_u32_f32_e32 v168, v168                               // 0000000034C8: 7F500FA8
	v_mul_lo_u32 v169, v176, v168                              // 0000000034CC: D28500A9 000351B0
	v_mul_hi_u32 v169, v168, v169                              // 0000000034D4: D28600A9 000353A8
	v_add_u32_e32 v168, v168, v169                             // 0000000034DC: 695153A8
	v_mul_hi_u32 v168, v173, v168                              // 0000000034E0: D28600A8 000351AD
	v_mul_lo_u32 v169, v168, s53                               // 0000000034E8: D28500A9 00006BA8
	v_sub_u32_e32 v171, v173, v169                             // 0000000034F0: 6B5753AD
	v_add_u32_e32 v170, 1, v168                                // 0000000034F4: 69555081
	v_cmp_le_u32_e32 vcc, s53, v171                            // 0000000034F8: 7D975635
	v_subrev_u32_e32 v169, s53, v171                           // 0000000034FC: 6D535635
	s_nop 0                                                    // 000000003500: BF800000
	v_cndmask_b32_e32 v168, v168, v170, vcc                    // 000000003504: 015155A8
	v_cndmask_b32_e32 v171, v171, v169, vcc                    // 000000003508: 015753AB
	v_add_u32_e32 v169, 1, v168                                // 00000000350C: 69535081
	v_cmp_le_u32_e32 vcc, s53, v171                            // 000000003510: 7D975635
	s_nop 1                                                    // 000000003514: BF800001
	v_cndmask_b32_e32 v176, v168, v169, vcc                    // 000000003518: 016153A8
	v_add_u32_e32 v220, s54, v176                              // 00000000351C: 69B96036
	v_cmp_lt_u32_e32 vcc, s62, v220                            // 000000003520: 7D93B83E
	v_mov_b32_e32 v169, s62                                    // 000000003524: 7F52023E
	v_cndmask_b32_e32 v220, v220, v169, vcc                    // 000000003528: 01B953DC
	v_cvt_f32_u32_e32 v168, s53                                // 00000000352C: 7F500C35
	v_sub_i32 v176, 0, s53                                     // 000000003530: D29D00B0 00006A80
	v_rcp_iflag_f32_e32 v168, v168                             // 000000003538: 7F5047A8
	s_nop 0                                                    // 00000000353C: BF800000
	v_mul_f32_e32 v168, 0x4f7ffffe, v168                       // 000000003540: 0B5150FF 4F7FFFFE
	v_cvt_u32_f32_e32 v168, v168                               // 000000003548: 7F500FA8
	v_mul_lo_u32 v169, v176, v168                              // 00000000354C: D28500A9 000351B0
	v_mul_hi_u32 v169, v168, v169                              // 000000003554: D28600A9 000353A8
	v_add_u32_e32 v168, v168, v169                             // 00000000355C: 695153A8
	v_mul_hi_u32 v168, v174, v168                              // 000000003560: D28600A8 000351AE
	v_mul_lo_u32 v169, v168, s53                               // 000000003568: D28500A9 00006BA8
	v_sub_u32_e32 v171, v174, v169                             // 000000003570: 6B5753AE
	v_add_u32_e32 v170, 1, v168                                // 000000003574: 69555081
	v_cmp_le_u32_e32 vcc, s53, v171                            // 000000003578: 7D975635
	v_subrev_u32_e32 v169, s53, v171                           // 00000000357C: 6D535635
	s_nop 0                                                    // 000000003580: BF800000
	v_cndmask_b32_e32 v168, v168, v170, vcc                    // 000000003584: 015155A8
	v_cndmask_b32_e32 v171, v171, v169, vcc                    // 000000003588: 015753AB
	v_add_u32_e32 v169, 1, v168                                // 00000000358C: 69535081
	v_cmp_le_u32_e32 vcc, s53, v171                            // 000000003590: 7D975635
	s_nop 1                                                    // 000000003594: BF800001
	v_cndmask_b32_e32 v176, v168, v169, vcc                    // 000000003598: 016153A8
	v_add_u32_e32 v221, s54, v176                              // 00000000359C: 69BB6036
	v_cmp_lt_u32_e32 vcc, s62, v221                            // 0000000035A0: 7D93BA3E
	v_mov_b32_e32 v169, s62                                    // 0000000035A4: 7F52023E
	v_cndmask_b32_e32 v221, v221, v169, vcc                    // 0000000035A8: 01BB53DD
	s_waitcnt vmcnt(18)                                        // 0000000035AC: BF8C4F72
	v_lshlrev_b32_e32 v16, 16, v4                              // 0000000035B0: 24200890
	v_and_b32_e32 v17, 0xffff0000, v4                          // 0000000035B4: 262208FF FFFF0000
	v_lshlrev_b32_e32 v18, 16, v5                              // 0000000035BC: 24240A90
	v_and_b32_e32 v19, 0xffff0000, v5                          // 0000000035C0: 26260AFF FFFF0000
	v_lshlrev_b32_e32 v20, 16, v6                              // 0000000035C8: 24280C90
	v_and_b32_e32 v21, 0xffff0000, v6                          // 0000000035CC: 262A0CFF FFFF0000
	v_lshlrev_b32_e32 v22, 16, v7                              // 0000000035D4: 242C0E90
	v_and_b32_e32 v23, 0xffff0000, v7                          // 0000000035D8: 262E0EFF FFFF0000
	v_lshlrev_b32_e32 v24, 16, v8                              // 0000000035E0: 24301090
	v_and_b32_e32 v25, 0xffff0000, v8                          // 0000000035E4: 263210FF FFFF0000
	v_lshlrev_b32_e32 v26, 16, v9                              // 0000000035EC: 24341290
	v_and_b32_e32 v27, 0xffff0000, v9                          // 0000000035F0: 263612FF FFFF0000
	v_lshlrev_b32_e32 v28, 16, v10                             // 0000000035F8: 24381490
	v_and_b32_e32 v29, 0xffff0000, v10                         // 0000000035FC: 263A14FF FFFF0000
	v_lshlrev_b32_e32 v30, 16, v11                             // 000000003604: 243C1690
	v_and_b32_e32 v31, 0xffff0000, v11                         // 000000003608: 263E16FF FFFF0000
	v_lshlrev_b32_e32 v32, 16, v12                             // 000000003610: 24401890
	v_and_b32_e32 v33, 0xffff0000, v12                         // 000000003614: 264218FF FFFF0000
	v_lshlrev_b32_e32 v34, 16, v13                             // 00000000361C: 24441A90
	v_and_b32_e32 v35, 0xffff0000, v13                         // 000000003620: 26461AFF FFFF0000
	v_lshlrev_b32_e32 v36, 16, v14                             // 000000003628: 24481C90
	v_and_b32_e32 v37, 0xffff0000, v14                         // 00000000362C: 264A1CFF FFFF0000
	v_lshlrev_b32_e32 v38, 16, v15                             // 000000003634: 244C1E90
	v_and_b32_e32 v39, 0xffff0000, v15                         // 000000003638: 264E1EFF FFFF0000
	v_mov_b32_e32 v188, 0x358637bd                             // 000000003640: 7F7802FF 358637BD
	v_max3_f32 v188, |v16|, |v17|, v188                        // 000000003648: D1D303BC 06F22310
	v_max3_f32 v188, |v18|, |v19|, v188                        // 000000003650: D1D303BC 06F22712
	v_max3_f32 v188, |v20|, |v21|, v188                        // 000000003658: D1D303BC 06F22B14
	v_max3_f32 v188, |v22|, |v23|, v188                        // 000000003660: D1D303BC 06F22F16
	v_mov_b32_e32 v189, 0x358637bd                             // 000000003668: 7F7A02FF 358637BD
	v_max3_f32 v189, |v24|, |v25|, v189                        // 000000003670: D1D303BD 06F63318
	v_max3_f32 v189, |v26|, |v27|, v189                        // 000000003678: D1D303BD 06F6371A
	v_max3_f32 v189, |v28|, |v29|, v189                        // 000000003680: D1D303BD 06F63B1C
	v_max3_f32 v189, |v30|, |v31|, v189                        // 000000003688: D1D303BD 06F63F1E
	v_mov_b32_e32 v190, 0x358637bd                             // 000000003690: 7F7C02FF 358637BD
	v_max3_f32 v190, |v32|, |v33|, v190                        // 000000003698: D1D303BE 06FA4320
	v_max3_f32 v190, |v34|, |v35|, v190                        // 0000000036A0: D1D303BE 06FA4722
	v_max3_f32 v190, |v36|, |v37|, v190                        // 0000000036A8: D1D303BE 06FA4B24
	v_max3_f32 v190, |v38|, |v39|, v190                        // 0000000036B0: D1D303BE 06FA4F26
	v_max_f32_dpp v188, v188, v188 row_shl:8 row_mask:0xf bank_mask:0xf bound_ctrl:1// 0000000036B8: 177978FA FF0908BC
	v_max_f32_dpp v189, v189, v189 row_shl:8 row_mask:0xf bank_mask:0xf bound_ctrl:1// 0000000036C0: 177B7AFA FF0908BD
	v_max_f32_dpp v190, v190, v190 row_shl:8 row_mask:0xf bank_mask:0xf bound_ctrl:1// 0000000036C8: 177D7CFA FF0908BE
	v_max_f32_dpp v188, v188, v188 row_shl:4 row_mask:0xf bank_mask:0xf bound_ctrl:1// 0000000036D0: 177978FA FF0904BC
	v_max_f32_dpp v189, v189, v189 row_shl:4 row_mask:0xf bank_mask:0xf bound_ctrl:1// 0000000036D8: 177B7AFA FF0904BD
	v_max_f32_dpp v190, v190, v190 row_shl:4 row_mask:0xf bank_mask:0xf bound_ctrl:1// 0000000036E0: 177D7CFA FF0904BE
	v_max_f32_dpp v188, v188, v188 row_shl:2 row_mask:0xf bank_mask:0xf bound_ctrl:1// 0000000036E8: 177978FA FF0902BC
	v_max_f32_dpp v189, v189, v189 row_shl:2 row_mask:0xf bank_mask:0xf bound_ctrl:1// 0000000036F0: 177B7AFA FF0902BD
	v_max_f32_dpp v190, v190, v190 row_shl:2 row_mask:0xf bank_mask:0xf bound_ctrl:1// 0000000036F8: 177D7CFA FF0902BE
	v_max_f32_dpp v188, v188, v188 row_shl:1 row_mask:0xf bank_mask:0xf bound_ctrl:1// 000000003700: 177978FA FF0901BC
	v_max_f32_dpp v189, v189, v189 row_shl:1 row_mask:0xf bank_mask:0xf bound_ctrl:1// 000000003708: 177B7AFA FF0901BD
	v_max_f32_dpp v190, v190, v190 row_shl:1 row_mask:0xf bank_mask:0xf bound_ctrl:1// 000000003710: 177D7CFA FF0901BE
	ds_write_b128 v246, v[188:191] offset:4096                 // 000000003718: D9BE1000 0000BCF6
	s_waitcnt lgkmcnt(0)                                       // 000000003720: BF8CC07F
	s_barrier                                                  // 000000003724: BF8A0000
	ds_read_b128 v[188:191], v248 offset:4096                  // 000000003728: D9FE1000 BC0000F8
	s_waitcnt lgkmcnt(0)                                       // 000000003730: BF8CC07F
	v_rcp_f32_e32 v188, v188                                   // 000000003734: 7F7845BC
	v_rcp_f32_e32 v189, v189                                   // 000000003738: 7F7A45BD
	v_rcp_f32_e32 v190, v190                                   // 00000000373C: 7F7C45BE
	v_mul_f32_e32 v188, 0x43700000, v188                       // 000000003740: 0B7978FF 43700000
	v_mul_f32_e32 v189, 0x43700000, v189                       // 000000003748: 0B7B7AFF 43700000
	v_mul_f32_e32 v190, 0x43700000, v190                       // 000000003750: 0B7D7CFF 43700000
	s_lshl_b32 s54, s57, 2                                     // 000000003758: 8E368239
	v_lshrrev_b32_e32 v171, 4, v0                              // 00000000375C: 21560084
	v_add_u32_e32 v171, s54, v171                              // 000000003760: 69575636
	v_lshlrev_b32_e32 v171, 2, v171                            // 000000003764: 25575682
	ds_bpermute_b32 v168, v171, v188                           // 000000003768: D87E0000 A800BCAB
	ds_bpermute_b32 v169, v171, v189                           // 000000003770: D87E0000 A900BDAB
	ds_bpermute_b32 v170, v171, v190                           // 000000003778: D87E0000 AA00BEAB
	v_mov_b32_dpp v172, v190 row_shr:8 row_mask:0xf bank_mask:0xf// 000000003780: 7F5802FA FF0118BE
	v_cndmask_b32_e64 v190, v190, v172, s[0:1]                 // 000000003788: D10000BE 000359BE
	v_rcp_f32_e32 v148, v188                                   // 000000003790: 7F2845BC
	v_rcp_f32_e32 v150, v189                                   // 000000003794: 7F2C45BD
	v_rcp_f32_e32 v152, v190                                   // 000000003798: 7F3045BE
	v_mov_b32_e32 v149, v148                                   // 00000000379C: 7F2A0394
	v_mov_b32_e32 v151, v150                                   // 0000000037A0: 7F2E0396
	v_mov_b32_e32 v153, v152                                   // 0000000037A4: 7F320398
	s_waitcnt lgkmcnt(0)                                       // 0000000037A8: BF8CC07F
	v_mul_f32_e32 v16, v16, v168                               // 0000000037AC: 0A215110
	v_mul_f32_e32 v17, v17, v168                               // 0000000037B0: 0A235111
	v_mul_f32_e32 v18, v18, v168                               // 0000000037B4: 0A255112
	v_mul_f32_e32 v19, v19, v168                               // 0000000037B8: 0A275113
	v_mul_f32_e32 v20, v20, v168                               // 0000000037BC: 0A295114
	v_mul_f32_e32 v21, v21, v168                               // 0000000037C0: 0A2B5115
	v_mul_f32_e32 v22, v22, v168                               // 0000000037C4: 0A2D5116
	v_mul_f32_e32 v23, v23, v168                               // 0000000037C8: 0A2F5117
	v_mul_f32_e32 v24, v24, v169                               // 0000000037CC: 0A315318
	v_mul_f32_e32 v25, v25, v169                               // 0000000037D0: 0A335319
	v_mul_f32_e32 v26, v26, v169                               // 0000000037D4: 0A35531A
	v_mul_f32_e32 v27, v27, v169                               // 0000000037D8: 0A37531B
	v_mul_f32_e32 v28, v28, v169                               // 0000000037DC: 0A39531C
	v_mul_f32_e32 v29, v29, v169                               // 0000000037E0: 0A3B531D
	v_mul_f32_e32 v30, v30, v169                               // 0000000037E4: 0A3D531E
	v_mul_f32_e32 v31, v31, v169                               // 0000000037E8: 0A3F531F
	v_mul_f32_e32 v32, v32, v170                               // 0000000037EC: 0A415520
	v_mul_f32_e32 v33, v33, v170                               // 0000000037F0: 0A435521
	v_mul_f32_e32 v34, v34, v170                               // 0000000037F4: 0A455522
	v_mul_f32_e32 v35, v35, v170                               // 0000000037F8: 0A475523
	v_mul_f32_e32 v36, v36, v170                               // 0000000037FC: 0A495524
	v_mul_f32_e32 v37, v37, v170                               // 000000003800: 0A4B5525
	v_mul_f32_e32 v38, v38, v170                               // 000000003804: 0A4D5526
	v_mul_f32_e32 v39, v39, v170                               // 000000003808: 0A4F5527
	v_cvt_pk_fp8_f32 v16, v16, v17                             // 00000000380C: D2A20010 00022310
	v_cvt_pk_fp8_f32 v16, v18, v19 op_sel:[0,0,1]              // 000000003814: D2A24010 00022712
	v_cvt_pk_fp8_f32 v17, v20, v21                             // 00000000381C: D2A20011 00022B14
	v_cvt_pk_fp8_f32 v17, v22, v23 op_sel:[0,0,1]              // 000000003824: D2A24011 00022F16
	v_cvt_pk_fp8_f32 v18, v24, v25                             // 00000000382C: D2A20012 00023318
	v_cvt_pk_fp8_f32 v18, v26, v27 op_sel:[0,0,1]              // 000000003834: D2A24012 0002371A
	v_cvt_pk_fp8_f32 v19, v28, v29                             // 00000000383C: D2A20013 00023B1C
	v_cvt_pk_fp8_f32 v19, v30, v31 op_sel:[0,0,1]              // 000000003844: D2A24013 00023F1E
	v_cvt_pk_fp8_f32 v20, v32, v33                             // 00000000384C: D2A20014 00024320
	v_cvt_pk_fp8_f32 v20, v34, v35 op_sel:[0,0,1]              // 000000003854: D2A24014 00024722
	v_cvt_pk_fp8_f32 v21, v36, v37                             // 00000000385C: D2A20015 00024B24
	v_cvt_pk_fp8_f32 v21, v38, v39 op_sel:[0,0,1]              // 000000003864: D2A24015 00024F26
	v_and_b32_e32 v20, s100, v20                               // 00000000386C: 26282864
	v_and_b32_e32 v21, s100, v21                               // 000000003870: 262A2A64
	ds_write_b64 v247, v[16:17] offset:8192                    // 000000003874: D89A2000 000010F7
	ds_write_b64 v247, v[18:19] offset:10496                   // 00000000387C: D89A2900 000012F7
	ds_write_b64 v247, v[20:21] offset:12800                   // 000000003884: D89A3200 000014F7
	s_waitcnt lgkmcnt(0)                                       // 00000000388C: BF8CC07F
	s_barrier                                                  // 000000003890: BF8A0000
	ds_read_b128 a[0:3], v249 offset:8192                      // 000000003894: DBFE2000 000000F9
	ds_read_b128 a[4:7], v249 offset:8256                      // 00000000389C: DBFE2040 040000F9
	ds_read_b128 a[8:11], v249 offset:10496                    // 0000000038A4: DBFE2900 080000F9
	ds_read_b128 a[12:15], v249 offset:10560                   // 0000000038AC: DBFE2940 0C0000F9
	ds_read_b128 a[16:19], v249 offset:12800                   // 0000000038B4: DBFE3200 100000F9
	ds_read_b128 a[20:23], v249 offset:12864                   // 0000000038BC: DBFE3240 140000F9
	s_waitcnt lgkmcnt(0)                                       // 0000000038C4: BF8CC07F
	s_cmp_lt_i32 s57, 2                                        // 0000000038C8: BF048239
	s_cbranch_scc0 label_1548                                  // 0000000038CC: BF841114

00000000000038d0 <label_0434>:
	s_cmp_lt_i32 s64, s63                                      // 0000000038D0: BF043F40
	s_cbranch_scc0 label_265C                                  // 0000000038D4: BF842226
	s_waitcnt vmcnt(10)                                        // 0000000038D8: BF8C0F7A
	v_mfma_f32_16x16x32_fp8_fp8 v[4:7], a[24:25], a[0:1], 0    // 0000000038DC: D3F30004 1A020118
	s_add_u32 s12, s86, s69                                    // 0000000038E4: 800C4556
	s_addc_u32 s13, s87, 0                                     // 0000000038E8: 820D8057
	v_mfma_f32_16x16x32_fp8_fp8 v[4:7], a[26:27], a[2:3], v[4:7]// 0000000038EC: D3F30004 1C12051A
	s_add_u32 s16, s88, s70                                    // 0000000038F4: 80104658
	s_addc_u32 s17, s89, 0                                     // 0000000038F8: 82118059
	v_mfma_f32_16x16x32_fp8_fp8 v[4:7], a[28:29], a[4:5], v[4:7]// 0000000038FC: D3F30004 1C12091C
	buffer_load_dwordx4 a[56:59], v232, s[12:15], 0 offen      // 000000003904: E05C1000 808338E8
	v_mfma_f32_16x16x32_fp8_fp8 v[4:7], a[30:31], a[6:7], v[4:7]// 00000000390C: D3F30004 1C120D1E
	s_add_u32 s20, s90, s71                                    // 000000003914: 8014475A
	s_addc_u32 s21, s91, 0                                     // 000000003918: 8215805B
	v_mfma_f32_16x16x32_fp8_fp8 v[8:11], a[32:33], a[0:1], 0   // 00000000391C: D3F30008 1A020120
	s_add_u32 s24, s92, s71                                    // 000000003924: 8018475C
	s_addc_u32 s25, s93, 0                                     // 000000003928: 8219805D
	v_mfma_f32_16x16x32_fp8_fp8 v[8:11], a[34:35], a[2:3], v[8:11]// 00000000392C: D3F30008 1C220522
	s_add_u32 s69, s69, 0x1000                                 // 000000003934: 8045FF45 00001000
	s_add_u32 s70, s70, 0x8000                                 // 00000000393C: 8046FF46 00008000
	v_mfma_f32_16x16x32_fp8_fp8 v[8:11], a[36:37], a[4:5], v[8:11]// 000000003944: D3F30008 1C220924
	buffer_load_dwordx4 a[60:63], v233, s[12:15], 0 offen      // 00000000394C: E05C1000 80833CE9
	v_mfma_f32_16x16x32_fp8_fp8 v[8:11], a[38:39], a[6:7], v[8:11]// 000000003954: D3F30008 1C220D26
	s_add_u32 s71, s71, 0x400                                  // 00000000395C: 8047FF47 00000400
	v_mfma_f32_16x16x32_fp8_fp8 v[12:15], a[40:41], a[0:1], 0  // 000000003964: D3F3000C 1A020128
	v_mfma_f32_16x16x32_fp8_fp8 v[12:15], a[42:43], a[2:3], v[12:15]// 00000000396C: D3F3000C 1C32052A
	v_mfma_f32_16x16x32_fp8_fp8 v[12:15], a[44:45], a[4:5], v[12:15]// 000000003974: D3F3000C 1C32092C
	buffer_load_dwordx4 a[64:67], v232, s[12:15], 0 offen offset:1024// 00000000397C: E05C1400 808340E8
	v_mfma_f32_16x16x32_fp8_fp8 v[12:15], a[46:47], a[6:7], v[12:15]// 000000003984: D3F3000C 1C320D2E
	v_mfma_f32_16x16x32_fp8_fp8 v[16:19], a[48:49], a[0:1], 0  // 00000000398C: D3F30010 1A020130
	v_mfma_f32_16x16x32_fp8_fp8 v[16:19], a[50:51], a[2:3], v[16:19]// 000000003994: D3F30010 1C420532
	v_mfma_f32_16x16x32_fp8_fp8 v[16:19], a[52:53], a[4:5], v[16:19]// 00000000399C: D3F30010 1C420934
	buffer_load_dwordx4 a[68:71], v233, s[12:15], 0 offen offset:1024// 0000000039A4: E05C1400 808344E9
	v_mfma_f32_16x16x32_fp8_fp8 v[16:19], a[54:55], a[6:7], v[16:19]// 0000000039AC: D3F30010 1C420D36
	v_mfma_f32_16x16x32_fp8_fp8 v[20:23], a[24:25], a[8:9], 0  // 0000000039B4: D3F30014 1A021118
	v_mfma_f32_16x16x32_fp8_fp8 v[20:23], a[26:27], a[10:11], v[20:23]// 0000000039BC: D3F30014 1C52151A
	v_mfma_f32_16x16x32_fp8_fp8 v[20:23], a[28:29], a[12:13], v[20:23]// 0000000039C4: D3F30014 1C52191C
	buffer_load_dwordx4 a[72:75], v232, s[12:15], 0 offen offset:2048// 0000000039CC: E05C1800 808348E8
	v_mfma_f32_16x16x32_fp8_fp8 v[20:23], a[30:31], a[14:15], v[20:23]// 0000000039D4: D3F30014 1C521D1E
	v_mfma_f32_16x16x32_fp8_fp8 v[24:27], a[32:33], a[8:9], 0  // 0000000039DC: D3F30018 1A021120
	v_mfma_f32_16x16x32_fp8_fp8 v[24:27], a[34:35], a[10:11], v[24:27]// 0000000039E4: D3F30018 1C621522
	v_mfma_f32_16x16x32_fp8_fp8 v[24:27], a[36:37], a[12:13], v[24:27]// 0000000039EC: D3F30018 1C621924
	buffer_load_dwordx4 a[76:79], v233, s[12:15], 0 offen offset:2048// 0000000039F4: E05C1800 80834CE9
	v_mfma_f32_16x16x32_fp8_fp8 v[24:27], a[38:39], a[14:15], v[24:27]// 0000000039FC: D3F30018 1C621D26
	v_mfma_f32_16x16x32_fp8_fp8 v[28:31], a[40:41], a[8:9], 0  // 000000003A04: D3F3001C 1A021128
	v_mfma_f32_16x16x32_fp8_fp8 v[28:31], a[42:43], a[10:11], v[28:31]// 000000003A0C: D3F3001C 1C72152A
	v_mfma_f32_16x16x32_fp8_fp8 v[28:31], a[44:45], a[12:13], v[28:31]// 000000003A14: D3F3001C 1C72192C
	buffer_load_dwordx4 a[80:83], v232, s[12:15], 0 offen offset:3072// 000000003A1C: E05C1C00 808350E8
	v_mfma_f32_16x16x32_fp8_fp8 v[28:31], a[46:47], a[14:15], v[28:31]// 000000003A24: D3F3001C 1C721D2E
	v_mfma_f32_16x16x32_fp8_fp8 v[32:35], a[48:49], a[8:9], 0  // 000000003A2C: D3F30020 1A021130
	v_mfma_f32_16x16x32_fp8_fp8 v[32:35], a[50:51], a[10:11], v[32:35]// 000000003A34: D3F30020 1C821532
	v_mfma_f32_16x16x32_fp8_fp8 v[32:35], a[52:53], a[12:13], v[32:35]// 000000003A3C: D3F30020 1C821934
	buffer_load_dwordx4 a[84:87], v233, s[12:15], 0 offen offset:3072// 000000003A44: E05C1C00 808354E9
	v_mfma_f32_16x16x32_fp8_fp8 v[32:35], a[54:55], a[14:15], v[32:35]// 000000003A4C: D3F30020 1C821D36
	v_mfma_f32_16x16x32_fp8_fp8 v[36:39], a[24:25], a[16:17], 0// 000000003A54: D3F30024 1A022118
	v_mfma_f32_16x16x32_fp8_fp8 v[36:39], a[26:27], a[18:19], v[36:39]// 000000003A5C: D3F30024 1C92251A
	v_mfma_f32_16x16x32_fp8_fp8 v[36:39], a[28:29], a[20:21], v[36:39]// 000000003A64: D3F30024 1C92291C
	v_mfma_f32_16x16x32_fp8_fp8 v[36:39], a[30:31], a[22:23], v[36:39]// 000000003A6C: D3F30024 1C922D1E
	v_mfma_f32_16x16x32_fp8_fp8 v[40:43], a[32:33], a[16:17], 0// 000000003A74: D3F30028 1A022120
	v_mfma_f32_16x16x32_fp8_fp8 v[40:43], a[34:35], a[18:19], v[40:43]// 000000003A7C: D3F30028 1CA22522
	v_mfma_f32_16x16x32_fp8_fp8 v[40:43], a[36:37], a[20:21], v[40:43]// 000000003A84: D3F30028 1CA22924
	v_mfma_f32_16x16x32_fp8_fp8 v[40:43], a[38:39], a[22:23], v[40:43]// 000000003A8C: D3F30028 1CA22D26
	v_mfma_f32_16x16x32_fp8_fp8 v[44:47], a[40:41], a[16:17], 0// 000000003A94: D3F3002C 1A022128
	v_mfma_f32_16x16x32_fp8_fp8 v[44:47], a[42:43], a[18:19], v[44:47]// 000000003A9C: D3F3002C 1CB2252A
	v_mfma_f32_16x16x32_fp8_fp8 v[44:47], a[44:45], a[20:21], v[44:47]// 000000003AA4: D3F3002C 1CB2292C
	v_mfma_f32_16x16x32_fp8_fp8 v[44:47], a[46:47], a[22:23], v[44:47]// 000000003AAC: D3F3002C 1CB22D2E
	v_mfma_f32_16x16x32_fp8_fp8 v[48:51], a[48:49], a[16:17], 0// 000000003AB4: D3F30030 1A022130
	v_mfma_f32_16x16x32_fp8_fp8 v[48:51], a[50:51], a[18:19], v[48:51]// 000000003ABC: D3F30030 1CC22532
	v_mfma_f32_16x16x32_fp8_fp8 v[48:51], a[52:53], a[20:21], v[48:51]// 000000003AC4: D3F30030 1CC22934
	v_mfma_f32_16x16x32_fp8_fp8 v[48:51], a[54:55], a[22:23], v[48:51]// 000000003ACC: D3F30030 1CC22D36
	s_waitcnt vmcnt(16)                                        // 000000003AD4: BF8C4F70
	v_or_b32_dpp v36, v44, v36 row_shr:8 row_mask:0xf bank_mask:0xf bound_ctrl:1// 000000003AD8: 284848FA FF09182C
	v_or_b32_dpp v37, v45, v37 row_shr:8 row_mask:0xf bank_mask:0xf bound_ctrl:1// 000000003AE0: 284A4AFA FF09182D
	v_or_b32_dpp v38, v46, v38 row_shr:8 row_mask:0xf bank_mask:0xf bound_ctrl:1// 000000003AE8: 284C4CFA FF09182E
	v_or_b32_dpp v39, v47, v39 row_shr:8 row_mask:0xf bank_mask:0xf bound_ctrl:1// 000000003AF0: 284E4EFA FF09182F
	v_or_b32_dpp v40, v48, v40 row_shr:8 row_mask:0xf bank_mask:0xf bound_ctrl:1// 000000003AF8: 285050FA FF091830
	v_or_b32_dpp v41, v49, v41 row_shr:8 row_mask:0xf bank_mask:0xf bound_ctrl:1// 000000003B00: 285252FA FF091831
	v_or_b32_dpp v42, v50, v42 row_shr:8 row_mask:0xf bank_mask:0xf bound_ctrl:1// 000000003B08: 285454FA FF091832
	v_or_b32_dpp v43, v51, v43 row_shr:8 row_mask:0xf bank_mask:0xf bound_ctrl:1// 000000003B10: 285656FA FF091833
	v_mov_b32_dpp v168, v154 row_shr:4 row_mask:0xf bank_mask:0xf// 000000003B18: 7F5002FA FF01149A
	v_mov_b32_dpp v169, v154 row_shl:4 row_mask:0xf bank_mask:0xf// 000000003B20: 7F5202FA FF01049A
	v_cndmask_b32_e64 v164, v154, v168, s[2:3]                 // 000000003B28: D10000A4 000B519A
	v_cndmask_b32_e64 v165, v169, v154, s[2:3]                 // 000000003B30: D10000A5 000B35A9
	v_mov_b32_dpp v168, v156 row_shr:4 row_mask:0xf bank_mask:0xf// 000000003B38: 7F5002FA FF01149C
	v_mov_b32_dpp v169, v156 row_shl:4 row_mask:0xf bank_mask:0xf// 000000003B40: 7F5202FA FF01049C
	v_cndmask_b32_e64 v166, v156, v168, s[2:3]                 // 000000003B48: D10000A6 000B519C
	v_cndmask_b32_e64 v167, v169, v156, s[2:3]                 // 000000003B50: D10000A7 000B39A9
	v_pk_mul_f32 v[4:5], v[148:149], v[4:5]                    // 000000003B58: D3B14004 18020994
	v_pk_mul_f32 v[6:7], v[148:149], v[6:7]                    // 000000003B60: D3B14006 18020D94
	v_pk_mul_f32 v[8:9], v[148:149], v[8:9]                    // 000000003B68: D3B14008 18021194
	v_pk_mul_f32 v[10:11], v[148:149], v[10:11]                // 000000003B70: D3B1400A 18021594
	v_pk_mul_f32 v[12:13], v[148:149], v[12:13]                // 000000003B78: D3B1400C 18021994
	v_pk_mul_f32 v[14:15], v[148:149], v[14:15]                // 000000003B80: D3B1400E 18021D94
	v_pk_mul_f32 v[16:17], v[148:149], v[16:17]                // 000000003B88: D3B14010 18022194
	v_pk_mul_f32 v[18:19], v[148:149], v[18:19]                // 000000003B90: D3B14012 18022594
	v_mul_f32_dpp v4, v154, v4 row_newbcast:0 row_mask:0xf bank_mask:0xf// 000000003B98: 0A0808FA FF01509A
	v_mul_f32_dpp v5, v154, v5 row_newbcast:1 row_mask:0xf bank_mask:0xf// 000000003BA0: 0A0A0AFA FF01519A
	v_mul_f32_dpp v6, v154, v6 row_newbcast:2 row_mask:0xf bank_mask:0xf// 000000003BA8: 0A0C0CFA FF01529A
	v_mul_f32_dpp v7, v154, v7 row_newbcast:3 row_mask:0xf bank_mask:0xf// 000000003BB0: 0A0E0EFA FF01539A
	v_mul_f32_dpp v8, v154, v8 row_newbcast:4 row_mask:0xf bank_mask:0xf// 000000003BB8: 0A1010FA FF01549A
	v_mul_f32_dpp v9, v154, v9 row_newbcast:5 row_mask:0xf bank_mask:0xf// 000000003BC0: 0A1212FA FF01559A
	v_mul_f32_dpp v10, v154, v10 row_newbcast:6 row_mask:0xf bank_mask:0xf// 000000003BC8: 0A1414FA FF01569A
	v_mul_f32_dpp v11, v154, v11 row_newbcast:7 row_mask:0xf bank_mask:0xf// 000000003BD0: 0A1616FA FF01579A
	v_mul_f32_dpp v12, v154, v12 row_newbcast:8 row_mask:0xf bank_mask:0xf// 000000003BD8: 0A1818FA FF01589A
	v_mul_f32_dpp v13, v154, v13 row_newbcast:9 row_mask:0xf bank_mask:0xf// 000000003BE0: 0A1A1AFA FF01599A
	v_mul_f32_dpp v14, v154, v14 row_newbcast:10 row_mask:0xf bank_mask:0xf// 000000003BE8: 0A1C1CFA FF015A9A
	v_mul_f32_dpp v15, v154, v15 row_newbcast:11 row_mask:0xf bank_mask:0xf// 000000003BF0: 0A1E1EFA FF015B9A
	v_mul_f32_dpp v16, v154, v16 row_newbcast:12 row_mask:0xf bank_mask:0xf// 000000003BF8: 0A2020FA FF015C9A
	v_mul_f32_dpp v17, v154, v17 row_newbcast:13 row_mask:0xf bank_mask:0xf// 000000003C00: 0A2222FA FF015D9A
	v_mul_f32_dpp v18, v154, v18 row_newbcast:14 row_mask:0xf bank_mask:0xf// 000000003C08: 0A2424FA FF015E9A
	v_mul_f32_dpp v19, v154, v19 row_newbcast:15 row_mask:0xf bank_mask:0xf// 000000003C10: 0A2626FA FF015F9A
	v_pk_mul_f32 v[20:21], v[150:151], v[20:21]                // 000000003C18: D3B14014 18022996
	v_pk_mul_f32 v[22:23], v[150:151], v[22:23]                // 000000003C20: D3B14016 18022D96
	v_pk_mul_f32 v[24:25], v[150:151], v[24:25]                // 000000003C28: D3B14018 18023196
	v_pk_mul_f32 v[26:27], v[150:151], v[26:27]                // 000000003C30: D3B1401A 18023596
	v_pk_mul_f32 v[28:29], v[150:151], v[28:29]                // 000000003C38: D3B1401C 18023996
	v_pk_mul_f32 v[30:31], v[150:151], v[30:31]                // 000000003C40: D3B1401E 18023D96
	v_pk_mul_f32 v[32:33], v[150:151], v[32:33]                // 000000003C48: D3B14020 18024196
	v_pk_mul_f32 v[34:35], v[150:151], v[34:35]                // 000000003C50: D3B14022 18024596
	v_mul_f32_dpp v20, v154, v20 row_newbcast:0 row_mask:0xf bank_mask:0xf// 000000003C58: 0A2828FA FF01509A
	v_mul_f32_dpp v21, v154, v21 row_newbcast:1 row_mask:0xf bank_mask:0xf// 000000003C60: 0A2A2AFA FF01519A
	v_mul_f32_dpp v22, v154, v22 row_newbcast:2 row_mask:0xf bank_mask:0xf// 000000003C68: 0A2C2CFA FF01529A
	v_mul_f32_dpp v23, v154, v23 row_newbcast:3 row_mask:0xf bank_mask:0xf// 000000003C70: 0A2E2EFA FF01539A
	v_mul_f32_dpp v24, v154, v24 row_newbcast:4 row_mask:0xf bank_mask:0xf// 000000003C78: 0A3030FA FF01549A
	v_mul_f32_dpp v25, v154, v25 row_newbcast:5 row_mask:0xf bank_mask:0xf// 000000003C80: 0A3232FA FF01559A
	v_mul_f32_dpp v26, v154, v26 row_newbcast:6 row_mask:0xf bank_mask:0xf// 000000003C88: 0A3434FA FF01569A
	v_mul_f32_dpp v27, v154, v27 row_newbcast:7 row_mask:0xf bank_mask:0xf// 000000003C90: 0A3636FA FF01579A
	v_mul_f32_dpp v28, v154, v28 row_newbcast:8 row_mask:0xf bank_mask:0xf// 000000003C98: 0A3838FA FF01589A
	v_mul_f32_dpp v29, v154, v29 row_newbcast:9 row_mask:0xf bank_mask:0xf// 000000003CA0: 0A3A3AFA FF01599A
	v_mul_f32_dpp v30, v154, v30 row_newbcast:10 row_mask:0xf bank_mask:0xf// 000000003CA8: 0A3C3CFA FF015A9A
	v_mul_f32_dpp v31, v154, v31 row_newbcast:11 row_mask:0xf bank_mask:0xf// 000000003CB0: 0A3E3EFA FF015B9A
	v_mul_f32_dpp v32, v154, v32 row_newbcast:12 row_mask:0xf bank_mask:0xf// 000000003CB8: 0A4040FA FF015C9A
	v_mul_f32_dpp v33, v154, v33 row_newbcast:13 row_mask:0xf bank_mask:0xf// 000000003CC0: 0A4242FA FF015D9A
	v_mul_f32_dpp v34, v154, v34 row_newbcast:14 row_mask:0xf bank_mask:0xf// 000000003CC8: 0A4444FA FF015E9A
	v_mul_f32_dpp v35, v154, v35 row_newbcast:15 row_mask:0xf bank_mask:0xf// 000000003CD0: 0A4646FA FF015F9A
	v_pk_mul_f32 v[36:37], v[152:153], v[36:37]                // 000000003CD8: D3B14024 18024998
	v_pk_mul_f32 v[38:39], v[152:153], v[38:39]                // 000000003CE0: D3B14026 18024D98
	v_pk_mul_f32 v[40:41], v[152:153], v[40:41]                // 000000003CE8: D3B14028 18025198
	v_pk_mul_f32 v[42:43], v[152:153], v[42:43]                // 000000003CF0: D3B1402A 18025598
	v_mul_f32_dpp v36, v164, v36 quad_perm:[0,0,0,0] row_mask:0xf bank_mask:0xf// 000000003CF8: 0A4848FA FF0000A4
	v_mul_f32_dpp v37, v164, v37 quad_perm:[1,1,1,1] row_mask:0xf bank_mask:0xf// 000000003D00: 0A4A4AFA FF0055A4
	v_mul_f32_dpp v38, v164, v38 quad_perm:[2,2,2,2] row_mask:0xf bank_mask:0xf// 000000003D08: 0A4C4CFA FF00AAA4
	v_mul_f32_dpp v39, v164, v39 quad_perm:[3,3,3,3] row_mask:0xf bank_mask:0xf// 000000003D10: 0A4E4EFA FF00FFA4
	v_mul_f32_dpp v40, v165, v40 quad_perm:[0,0,0,0] row_mask:0xf bank_mask:0xf// 000000003D18: 0A5050FA FF0000A5
	v_mul_f32_dpp v41, v165, v41 quad_perm:[1,1,1,1] row_mask:0xf bank_mask:0xf// 000000003D20: 0A5252FA FF0055A5
	v_mul_f32_dpp v42, v165, v42 quad_perm:[2,2,2,2] row_mask:0xf bank_mask:0xf// 000000003D28: 0A5454FA FF00AAA5
	v_mul_f32_dpp v43, v165, v43 quad_perm:[3,3,3,3] row_mask:0xf bank_mask:0xf// 000000003D30: 0A5656FA FF00FFA5
	v_mov_b32_e32 v190, v36                                    // 000000003D38: 7F7C0324
	v_max3_f32 v190, v36, v37, v190                            // 000000003D3C: D1D300BE 06FA4B24
	v_max3_f32 v190, v38, v39, v190                            // 000000003D44: D1D300BE 06FA4F26
	v_max3_f32 v190, v40, v41, v190                            // 000000003D4C: D1D300BE 06FA5328
	v_max3_f32 v190, v42, v43, v190                            // 000000003D54: D1D300BE 06FA572A
	v_mov_b32_e32 v189, v20                                    // 000000003D5C: 7F7A0314
	v_max3_f32 v189, v20, v21, v189                            // 000000003D60: D1D300BD 06F62B14
	v_max3_f32 v189, v22, v23, v189                            // 000000003D68: D1D300BD 06F62F16
	v_max3_f32 v189, v24, v25, v189                            // 000000003D70: D1D300BD 06F63318
	v_max3_f32 v189, v26, v27, v189                            // 000000003D78: D1D300BD 06F6371A
	v_max3_f32 v189, v28, v29, v189                            // 000000003D80: D1D300BD 06F63B1C
	v_max3_f32 v189, v30, v31, v189                            // 000000003D88: D1D300BD 06F63F1E
	v_max3_f32 v189, v32, v33, v189                            // 000000003D90: D1D300BD 06F64320
	v_max3_f32 v189, v34, v35, v189                            // 000000003D98: D1D300BD 06F64722
	v_mov_b32_e32 v188, v4                                     // 000000003DA0: 7F780304
	v_max3_f32 v188, v4, v5, v188                              // 000000003DA4: D1D300BC 06F20B04
	v_max3_f32 v188, v6, v7, v188                              // 000000003DAC: D1D300BC 06F20F06
	v_max3_f32 v188, v8, v9, v188                              // 000000003DB4: D1D300BC 06F21308
	v_max3_f32 v188, v10, v11, v188                            // 000000003DBC: D1D300BC 06F2170A
	v_max3_f32 v188, v12, v13, v188                            // 000000003DC4: D1D300BC 06F21B0C
	v_max3_f32 v188, v14, v15, v188                            // 000000003DCC: D1D300BC 06F21F0E
	v_max3_f32 v188, v16, v17, v188                            // 000000003DD4: D1D300BC 06F22310
	v_max3_f32 v188, v18, v19, v188                            // 000000003DDC: D1D300BC 06F22712
	v_max_f32_dpp v190, v190, v190 row_ror:8 row_mask:0xf bank_mask:0xf// 000000003DE4: 177D7CFA FF0128BE
	ds_bpermute_b32 v172, v212, v188                           // 000000003DEC: D87E0000 AC00BCD4
	ds_bpermute_b32 v173, v213, v188                           // 000000003DF4: D87E0000 AD00BCD5
	ds_bpermute_b32 v174, v214, v188                           // 000000003DFC: D87E0000 AE00BCD6
	ds_bpermute_b32 v175, v212, v189                           // 000000003E04: D87E0000 AF00BDD4
	ds_bpermute_b32 v176, v213, v189                           // 000000003E0C: D87E0000 B000BDD5
	ds_bpermute_b32 v177, v214, v189                           // 000000003E14: D87E0000 B100BDD6
	ds_bpermute_b32 v178, v212, v190                           // 000000003E1C: D87E0000 B200BED4
	ds_bpermute_b32 v179, v213, v190                           // 000000003E24: D87E0000 B300BED5
	ds_bpermute_b32 v180, v214, v190                           // 000000003E2C: D87E0000 B400BED6
	v_pk_mul_f32 v[124:125], v[200:201], v[124:125]            // 000000003E34: D3B1407C 1802F9C8
	v_pk_mul_f32 v[126:127], v[200:201], v[126:127]            // 000000003E3C: D3B1407E 1802FDC8
	v_pk_mul_f32 v[128:129], v[200:201], v[128:129]            // 000000003E44: D3B14080 180301C8
	v_pk_mul_f32 v[130:131], v[200:201], v[130:131]            // 000000003E4C: D3B14082 180305C8
	v_pk_mul_f32 v[132:133], v[202:203], v[132:133]            // 000000003E54: D3B14084 180309CA
	v_pk_mul_f32 v[134:135], v[202:203], v[134:135]            // 000000003E5C: D3B14086 18030DCA
	v_pk_mul_f32 v[136:137], v[202:203], v[136:137]            // 000000003E64: D3B14088 180311CA
	v_pk_mul_f32 v[138:139], v[202:203], v[138:139]            // 000000003E6C: D3B1408A 180315CA
	v_pk_mul_f32 v[140:141], v[204:205], v[140:141]            // 000000003E74: D3B1408C 180319CC
	v_pk_mul_f32 v[142:143], v[204:205], v[142:143]            // 000000003E7C: D3B1408E 18031DCC
	v_pk_mul_f32 v[144:145], v[204:205], v[144:145]            // 000000003E84: D3B14090 180321CC
	v_pk_mul_f32 v[146:147], v[204:205], v[146:147]            // 000000003E8C: D3B14092 180325CC
	s_waitcnt lgkmcnt(6)                                       // 000000003E94: BF8CC67F
	v_max3_f32 v188, v172, v173, v188                          // 000000003E98: D1D300BC 06F35BAC
	v_max_f32_e32 v188, v174, v188                             // 000000003EA0: 177979AE
	s_waitcnt lgkmcnt(3)                                       // 000000003EA4: BF8CC37F
	v_max3_f32 v189, v175, v176, v189                          // 000000003EA8: D1D300BD 06F761AF
	v_max_f32_e32 v189, v177, v189                             // 000000003EB0: 177B7BB1
	s_waitcnt lgkmcnt(0)                                       // 000000003EB4: BF8CC07F
	v_max3_f32 v190, v178, v179, v190                          // 000000003EB8: D1D300BE 06FB67B2
	v_max_f32_e32 v190, v180, v190                             // 000000003EC0: 177D7DB4
	ds_write_b128 v252, v[188:191]                             // 000000003EC4: D9BE0000 0000BCFC
	s_waitcnt lgkmcnt(0)                                       // 000000003ECC: BF8CC07F
	s_barrier                                                  // 000000003ED0: BF8A0000
	ds_read_b128 v[172:175], v253                              // 000000003ED4: D9FE0000 AC0000FD
	ds_read_b128 v[176:179], v253 offset:256                   // 000000003EDC: D9FE0100 B00000FD
	ds_read_b128 v[180:183], v253 offset:512                   // 000000003EE4: D9FE0200 B40000FD
	ds_read_b128 v[184:187], v253 offset:768                   // 000000003EEC: D9FE0300 B80000FD
	v_pk_mul_f32 v[100:101], v[158:159], v[100:101]            // 000000003EF4: D3B14064 1802C99E
	v_pk_mul_f32 v[102:103], v[158:159], v[102:103]            // 000000003EFC: D3B14066 1802CD9E
	v_pk_mul_f32 v[104:105], v[158:159], v[104:105]            // 000000003F04: D3B14068 1802D19E
	v_pk_mul_f32 v[106:107], v[158:159], v[106:107]            // 000000003F0C: D3B1406A 1802D59E
	v_pk_mul_f32 v[108:109], v[160:161], v[108:109]            // 000000003F14: D3B1406C 1802D9A0
	v_pk_mul_f32 v[110:111], v[160:161], v[110:111]            // 000000003F1C: D3B1406E 1802DDA0
	v_pk_mul_f32 v[112:113], v[160:161], v[112:113]            // 000000003F24: D3B14070 1802E1A0
	v_pk_mul_f32 v[114:115], v[160:161], v[114:115]            // 000000003F2C: D3B14072 1802E5A0
	v_pk_mul_f32 v[116:117], v[162:163], v[116:117]            // 000000003F34: D3B14074 1802E9A2
	v_pk_mul_f32 v[118:119], v[162:163], v[118:119]            // 000000003F3C: D3B14076 1802EDA2
	v_pk_mul_f32 v[120:121], v[162:163], v[120:121]            // 000000003F44: D3B14078 1802F1A2
	v_pk_mul_f32 v[122:123], v[162:163], v[122:123]            // 000000003F4C: D3B1407A 1802F5A2
	s_waitcnt lgkmcnt(0)                                       // 000000003F54: BF8CC07F
	v_max3_f32 v188, v172, v176, v188                          // 000000003F58: D1D300BC 06F361AC
	v_max3_f32 v189, v173, v177, v189                          // 000000003F60: D1D300BD 06F763AD
	v_max3_f32 v190, v174, v178, v190                          // 000000003F68: D1D300BE 06FB65AE
	v_max3_f32 v188, v180, v184, v188                          // 000000003F70: D1D300BC 06F371B4
	v_max3_f32 v189, v181, v185, v189                          // 000000003F78: D1D300BD 06F773B5
	v_max3_f32 v190, v182, v186, v190                          // 000000003F80: D1D300BE 06FB75B6
	v_max_f32_e32 v197, v188, v194                             // 000000003F88: 178B85BC
	v_mul_f32_e64 v168, -s46, v197                             // 000000003F8C: D10500A8 20038A2E
	v_mov_b32_e32 v169, v168                                   // 000000003F94: 7F5203A8
	v_pk_fma_f32 v[4:5], v[4:5], s[46:47], v[168:169]          // 000000003F98: D3B04004 1EA05D04
	v_pk_fma_f32 v[6:7], v[6:7], s[46:47], v[168:169]          // 000000003FA0: D3B04006 1EA05D06
	v_exp_f32_e32 v4, v4                                       // 000000003FA8: 7E084104
	v_exp_f32_e32 v5, v5                                       // 000000003FAC: 7E0A4105
	v_exp_f32_e32 v6, v6                                       // 000000003FB0: 7E0C4106
	v_exp_f32_e32 v7, v7                                       // 000000003FB4: 7E0E4107
	v_pk_fma_f32 v[8:9], v[8:9], s[46:47], v[168:169]          // 000000003FB8: D3B04008 1EA05D08
	v_pk_fma_f32 v[10:11], v[10:11], s[46:47], v[168:169]      // 000000003FC0: D3B0400A 1EA05D0A
	v_exp_f32_e32 v8, v8                                       // 000000003FC8: 7E104108
	v_exp_f32_e32 v9, v9                                       // 000000003FCC: 7E124109
	v_exp_f32_e32 v10, v10                                     // 000000003FD0: 7E14410A
	v_exp_f32_e32 v11, v11                                     // 000000003FD4: 7E16410B
	v_pk_fma_f32 v[12:13], v[12:13], s[46:47], v[168:169]      // 000000003FD8: D3B0400C 1EA05D0C
	v_pk_fma_f32 v[14:15], v[14:15], s[46:47], v[168:169]      // 000000003FE0: D3B0400E 1EA05D0E
	v_exp_f32_e32 v12, v12                                     // 000000003FE8: 7E18410C
	v_exp_f32_e32 v13, v13                                     // 000000003FEC: 7E1A410D
	v_exp_f32_e32 v14, v14                                     // 000000003FF0: 7E1C410E
	v_exp_f32_e32 v15, v15                                     // 000000003FF4: 7E1E410F
	v_pk_fma_f32 v[16:17], v[16:17], s[46:47], v[168:169]      // 000000003FF8: D3B04010 1EA05D10
	v_pk_fma_f32 v[18:19], v[18:19], s[46:47], v[168:169]      // 000000004000: D3B04012 1EA05D12
	v_exp_f32_e32 v16, v16                                     // 000000004008: 7E204110
	v_exp_f32_e32 v17, v17                                     // 00000000400C: 7E224111
	v_exp_f32_e32 v18, v18                                     // 000000004010: 7E244112
	v_exp_f32_e32 v19, v19                                     // 000000004014: 7E264113
	v_max_f32_e32 v198, v189, v195                             // 000000004018: 178D87BD
	v_mul_f32_e64 v168, -s46, v198                             // 00000000401C: D10500A8 20038C2E
	v_mov_b32_e32 v169, v168                                   // 000000004024: 7F5203A8
	v_pk_fma_f32 v[20:21], v[20:21], s[46:47], v[168:169]      // 000000004028: D3B04014 1EA05D14
	v_pk_fma_f32 v[22:23], v[22:23], s[46:47], v[168:169]      // 000000004030: D3B04016 1EA05D16
	v_exp_f32_e32 v20, v20                                     // 000000004038: 7E284114
	v_exp_f32_e32 v21, v21                                     // 00000000403C: 7E2A4115
	v_exp_f32_e32 v22, v22                                     // 000000004040: 7E2C4116
	v_exp_f32_e32 v23, v23                                     // 000000004044: 7E2E4117
	v_pk_fma_f32 v[24:25], v[24:25], s[46:47], v[168:169]      // 000000004048: D3B04018 1EA05D18
	v_pk_fma_f32 v[26:27], v[26:27], s[46:47], v[168:169]      // 000000004050: D3B0401A 1EA05D1A
	v_exp_f32_e32 v24, v24                                     // 000000004058: 7E304118
	v_exp_f32_e32 v25, v25                                     // 00000000405C: 7E324119
	v_exp_f32_e32 v26, v26                                     // 000000004060: 7E34411A
	v_exp_f32_e32 v27, v27                                     // 000000004064: 7E36411B
	v_pk_fma_f32 v[28:29], v[28:29], s[46:47], v[168:169]      // 000000004068: D3B0401C 1EA05D1C
	v_pk_fma_f32 v[30:31], v[30:31], s[46:47], v[168:169]      // 000000004070: D3B0401E 1EA05D1E
	v_exp_f32_e32 v28, v28                                     // 000000004078: 7E38411C
	v_exp_f32_e32 v29, v29                                     // 00000000407C: 7E3A411D
	v_exp_f32_e32 v30, v30                                     // 000000004080: 7E3C411E
	v_exp_f32_e32 v31, v31                                     // 000000004084: 7E3E411F
	v_pk_fma_f32 v[32:33], v[32:33], s[46:47], v[168:169]      // 000000004088: D3B04020 1EA05D20
	v_pk_fma_f32 v[34:35], v[34:35], s[46:47], v[168:169]      // 000000004090: D3B04022 1EA05D22
	v_exp_f32_e32 v32, v32                                     // 000000004098: 7E404120
	v_exp_f32_e32 v33, v33                                     // 00000000409C: 7E424121
	v_exp_f32_e32 v34, v34                                     // 0000000040A0: 7E444122
	v_exp_f32_e32 v35, v35                                     // 0000000040A4: 7E464123
	v_max_f32_e32 v199, v190, v196                             // 0000000040A8: 178F89BE
	v_mul_f32_e64 v168, -s46, v199                             // 0000000040AC: D10500A8 20038E2E
	v_mov_b32_e32 v169, v168                                   // 0000000040B4: 7F5203A8
	v_pk_fma_f32 v[36:37], v[36:37], s[46:47], v[168:169]      // 0000000040B8: D3B04024 1EA05D24
	v_pk_fma_f32 v[38:39], v[38:39], s[46:47], v[168:169]      // 0000000040C0: D3B04026 1EA05D26
	v_exp_f32_e32 v36, v36                                     // 0000000040C8: 7E484124
	v_exp_f32_e32 v37, v37                                     // 0000000040CC: 7E4A4125
	v_exp_f32_e32 v38, v38                                     // 0000000040D0: 7E4C4126
	v_exp_f32_e32 v39, v39                                     // 0000000040D4: 7E4E4127
	v_pk_fma_f32 v[40:41], v[40:41], s[46:47], v[168:169]      // 0000000040D8: D3B04028 1EA05D28
	v_pk_fma_f32 v[42:43], v[42:43], s[46:47], v[168:169]      // 0000000040E0: D3B0402A 1EA05D2A
	v_exp_f32_e32 v40, v40                                     // 0000000040E8: 7E504128
	v_exp_f32_e32 v41, v41                                     // 0000000040EC: 7E524129
	v_exp_f32_e32 v42, v42                                     // 0000000040F0: 7E54412A
	v_exp_f32_e32 v43, v43                                     // 0000000040F4: 7E56412B
	v_mul_f32_dpp v52, v156, v4 row_newbcast:0 row_mask:0xf bank_mask:0xf// 0000000040F8: 0A6808FA FF01509C
	v_mul_f32_dpp v53, v156, v5 row_newbcast:1 row_mask:0xf bank_mask:0xf// 000000004100: 0A6A0AFA FF01519C
	v_mul_f32_dpp v54, v156, v6 row_newbcast:2 row_mask:0xf bank_mask:0xf// 000000004108: 0A6C0CFA FF01529C
	v_mul_f32_dpp v55, v156, v7 row_newbcast:3 row_mask:0xf bank_mask:0xf// 000000004110: 0A6E0EFA FF01539C
	v_mul_f32_dpp v56, v156, v8 row_newbcast:4 row_mask:0xf bank_mask:0xf// 000000004118: 0A7010FA FF01549C
	v_mul_f32_dpp v57, v156, v9 row_newbcast:5 row_mask:0xf bank_mask:0xf// 000000004120: 0A7212FA FF01559C
	v_mul_f32_dpp v58, v156, v10 row_newbcast:6 row_mask:0xf bank_mask:0xf// 000000004128: 0A7414FA FF01569C
	v_mul_f32_dpp v59, v156, v11 row_newbcast:7 row_mask:0xf bank_mask:0xf// 000000004130: 0A7616FA FF01579C
	v_mul_f32_dpp v60, v156, v12 row_newbcast:8 row_mask:0xf bank_mask:0xf// 000000004138: 0A7818FA FF01589C
	v_mul_f32_dpp v61, v156, v13 row_newbcast:9 row_mask:0xf bank_mask:0xf// 000000004140: 0A7A1AFA FF01599C
	v_mul_f32_dpp v62, v156, v14 row_newbcast:10 row_mask:0xf bank_mask:0xf// 000000004148: 0A7C1CFA FF015A9C
	v_mul_f32_dpp v63, v156, v15 row_newbcast:11 row_mask:0xf bank_mask:0xf// 000000004150: 0A7E1EFA FF015B9C
	v_mul_f32_dpp v64, v156, v16 row_newbcast:12 row_mask:0xf bank_mask:0xf// 000000004158: 0A8020FA FF015C9C
	v_mul_f32_dpp v65, v156, v17 row_newbcast:13 row_mask:0xf bank_mask:0xf// 000000004160: 0A8222FA FF015D9C
	v_mul_f32_dpp v66, v156, v18 row_newbcast:14 row_mask:0xf bank_mask:0xf// 000000004168: 0A8424FA FF015E9C
	v_mul_f32_dpp v67, v156, v19 row_newbcast:15 row_mask:0xf bank_mask:0xf// 000000004170: 0A8626FA FF015F9C
	v_mul_f32_dpp v68, v156, v20 row_newbcast:0 row_mask:0xf bank_mask:0xf// 000000004178: 0A8828FA FF01509C
	v_mul_f32_dpp v69, v156, v21 row_newbcast:1 row_mask:0xf bank_mask:0xf// 000000004180: 0A8A2AFA FF01519C
	v_mul_f32_dpp v70, v156, v22 row_newbcast:2 row_mask:0xf bank_mask:0xf// 000000004188: 0A8C2CFA FF01529C
	v_mul_f32_dpp v71, v156, v23 row_newbcast:3 row_mask:0xf bank_mask:0xf// 000000004190: 0A8E2EFA FF01539C
	v_mul_f32_dpp v72, v156, v24 row_newbcast:4 row_mask:0xf bank_mask:0xf// 000000004198: 0A9030FA FF01549C
	v_mul_f32_dpp v73, v156, v25 row_newbcast:5 row_mask:0xf bank_mask:0xf// 0000000041A0: 0A9232FA FF01559C
	v_mul_f32_dpp v74, v156, v26 row_newbcast:6 row_mask:0xf bank_mask:0xf// 0000000041A8: 0A9434FA FF01569C
	v_mul_f32_dpp v75, v156, v27 row_newbcast:7 row_mask:0xf bank_mask:0xf// 0000000041B0: 0A9636FA FF01579C
	v_mul_f32_dpp v76, v156, v28 row_newbcast:8 row_mask:0xf bank_mask:0xf// 0000000041B8: 0A9838FA FF01589C
	v_mul_f32_dpp v77, v156, v29 row_newbcast:9 row_mask:0xf bank_mask:0xf// 0000000041C0: 0A9A3AFA FF01599C
	v_mul_f32_dpp v78, v156, v30 row_newbcast:10 row_mask:0xf bank_mask:0xf// 0000000041C8: 0A9C3CFA FF015A9C
	v_mul_f32_dpp v79, v156, v31 row_newbcast:11 row_mask:0xf bank_mask:0xf// 0000000041D0: 0A9E3EFA FF015B9C
	v_mul_f32_dpp v80, v156, v32 row_newbcast:12 row_mask:0xf bank_mask:0xf// 0000000041D8: 0AA040FA FF015C9C
	v_mul_f32_dpp v81, v156, v33 row_newbcast:13 row_mask:0xf bank_mask:0xf// 0000000041E0: 0AA242FA FF015D9C
	v_mul_f32_dpp v82, v156, v34 row_newbcast:14 row_mask:0xf bank_mask:0xf// 0000000041E8: 0AA444FA FF015E9C
	v_mul_f32_dpp v83, v156, v35 row_newbcast:15 row_mask:0xf bank_mask:0xf// 0000000041F0: 0AA646FA FF015F9C
	v_mul_f32_dpp v84, v166, v36 quad_perm:[0,0,0,0] row_mask:0xf bank_mask:0xf// 0000000041F8: 0AA848FA FF0000A6
	v_mul_f32_dpp v85, v166, v37 quad_perm:[1,1,1,1] row_mask:0xf bank_mask:0xf// 000000004200: 0AAA4AFA FF0055A6
	v_mul_f32_dpp v86, v166, v38 quad_perm:[2,2,2,2] row_mask:0xf bank_mask:0xf// 000000004208: 0AAC4CFA FF00AAA6
	v_mul_f32_dpp v87, v166, v39 quad_perm:[3,3,3,3] row_mask:0xf bank_mask:0xf// 000000004210: 0AAE4EFA FF00FFA6
	v_mul_f32_dpp v88, v167, v40 quad_perm:[0,0,0,0] row_mask:0xf bank_mask:0xf// 000000004218: 0AB050FA FF0000A7
	v_mul_f32_dpp v89, v167, v41 quad_perm:[1,1,1,1] row_mask:0xf bank_mask:0xf// 000000004220: 0AB252FA FF0055A7
	v_mul_f32_dpp v90, v167, v42 quad_perm:[2,2,2,2] row_mask:0xf bank_mask:0xf// 000000004228: 0AB454FA FF00AAA7
	v_mul_f32_dpp v91, v167, v43 quad_perm:[3,3,3,3] row_mask:0xf bank_mask:0xf// 000000004230: 0AB656FA FF00FFA7
	v_mov_b32_e32 v190, 0x358637bd                             // 000000004238: 7F7C02FF 358637BD
	v_max3_f32 v190, |v84|, |v85|, v190                        // 000000004240: D1D303BE 06FAAB54
	v_max3_f32 v190, |v86|, |v87|, v190                        // 000000004248: D1D303BE 06FAAF56
	v_max3_f32 v190, |v88|, |v89|, v190                        // 000000004250: D1D303BE 06FAB358
	v_max3_f32 v190, |v90|, |v91|, v190                        // 000000004258: D1D303BE 06FAB75A
	v_mov_b32_e32 v189, 0x358637bd                             // 000000004260: 7F7A02FF 358637BD
	v_max3_f32 v189, |v68|, |v69|, v189                        // 000000004268: D1D303BD 06F68B44
	v_max3_f32 v189, |v70|, |v71|, v189                        // 000000004270: D1D303BD 06F68F46
	v_max3_f32 v189, |v72|, |v73|, v189                        // 000000004278: D1D303BD 06F69348
	v_max3_f32 v189, |v74|, |v75|, v189                        // 000000004280: D1D303BD 06F6974A
	v_max3_f32 v189, |v76|, |v77|, v189                        // 000000004288: D1D303BD 06F69B4C
	v_max3_f32 v189, |v78|, |v79|, v189                        // 000000004290: D1D303BD 06F69F4E
	v_max3_f32 v189, |v80|, |v81|, v189                        // 000000004298: D1D303BD 06F6A350
	v_max3_f32 v189, |v82|, |v83|, v189                        // 0000000042A0: D1D303BD 06F6A752
	v_mov_b32_e32 v188, 0x358637bd                             // 0000000042A8: 7F7802FF 358637BD
	v_max3_f32 v188, |v52|, |v53|, v188                        // 0000000042B0: D1D303BC 06F26B34
	v_max3_f32 v188, |v54|, |v55|, v188                        // 0000000042B8: D1D303BC 06F26F36
	v_max3_f32 v188, |v56|, |v57|, v188                        // 0000000042C0: D1D303BC 06F27338
	v_max3_f32 v188, |v58|, |v59|, v188                        // 0000000042C8: D1D303BC 06F2773A
	v_max3_f32 v188, |v60|, |v61|, v188                        // 0000000042D0: D1D303BC 06F27B3C
	v_max3_f32 v188, |v62|, |v63|, v188                        // 0000000042D8: D1D303BC 06F27F3E
	v_max3_f32 v188, |v64|, |v65|, v188                        // 0000000042E0: D1D303BC 06F28340
	v_max3_f32 v188, |v66|, |v67|, v188                        // 0000000042E8: D1D303BC 06F28742
	v_max_f32_dpp v190, v190, v190 row_ror:8 row_mask:0xf bank_mask:0xf// 0000000042F0: 177D7CFA FF0128BE
	ds_bpermute_b32 v172, v212, v188                           // 0000000042F8: D87E0000 AC00BCD4
	ds_bpermute_b32 v173, v213, v188                           // 000000004300: D87E0000 AD00BCD5
	ds_bpermute_b32 v174, v214, v188                           // 000000004308: D87E0000 AE00BCD6
	ds_bpermute_b32 v175, v212, v189                           // 000000004310: D87E0000 AF00BDD4
	ds_bpermute_b32 v176, v213, v189                           // 000000004318: D87E0000 B000BDD5
	ds_bpermute_b32 v177, v214, v189                           // 000000004320: D87E0000 B100BDD6
	ds_bpermute_b32 v178, v212, v190                           // 000000004328: D87E0000 B200BED4
	ds_bpermute_b32 v179, v213, v190                           // 000000004330: D87E0000 B300BED5
	ds_bpermute_b32 v180, v214, v190                           // 000000004338: D87E0000 B400BED6
	s_waitcnt lgkmcnt(6)                                       // 000000004340: BF8CC67F
	v_max3_f32 v188, v172, v173, v188                          // 000000004344: D1D300BC 06F35BAC
	v_max_f32_e32 v188, v174, v188                             // 00000000434C: 177979AE
	s_waitcnt lgkmcnt(3)                                       // 000000004350: BF8CC37F
	v_max3_f32 v189, v175, v176, v189                          // 000000004354: D1D300BD 06F761AF
	v_max_f32_e32 v189, v177, v189                             // 00000000435C: 177B7BB1
	s_waitcnt lgkmcnt(0)                                       // 000000004360: BF8CC07F
	v_max3_f32 v190, v178, v179, v190                          // 000000004364: D1D300BE 06FB67B2
	v_max_f32_e32 v190, v180, v190                             // 00000000436C: 177D7DB4
	ds_write_b128 v252, v[188:191] offset:4096                 // 000000004370: D9BE1000 0000BCFC
	buffer_load_dword v155, v238, s[20:23], 0 offen            // 000000004378: E0501000 80059BEE
	v_sub_f32_e32 v200, v194, v197                             // 000000004380: 05918BC2
	v_cmp_eq_u32_e64 s[98:99], v225, v194                      // 000000004384: D0CA0062 000385E1
	v_cndmask_b32_e64 v200, v200, 0, s[98:99]                  // 00000000438C: D10000C8 018901C8
	v_mov_b32_e32 v194, v197                                   // 000000004394: 7F8403C5
	v_mul_f32_e32 v200, s46, v200                              // 000000004398: 0B91902E
	v_exp_f32_e32 v200, v200                                   // 00000000439C: 7F9041C8
	v_sub_f32_e32 v202, v195, v198                             // 0000000043A0: 05958DC3
	v_cmp_eq_u32_e64 s[98:99], v225, v195                      // 0000000043A4: D0CA0062 000387E1
	v_cndmask_b32_e64 v202, v202, 0, s[98:99]                  // 0000000043AC: D10000CA 018901CA
	v_mov_b32_e32 v195, v198                                   // 0000000043B4: 7F8603C6
	v_mul_f32_e32 v202, s46, v202                              // 0000000043B8: 0B95942E
	v_exp_f32_e32 v202, v202                                   // 0000000043BC: 7F9441CA
	v_sub_f32_e32 v204, v196, v199                             // 0000000043C0: 05998FC4
	v_cmp_eq_u32_e64 s[98:99], v225, v196                      // 0000000043C4: D0CA0062 000389E1
	v_cndmask_b32_e64 v204, v204, 0, s[98:99]                  // 0000000043CC: D10000CC 018901CC
	v_mov_b32_e32 v196, v199                                   // 0000000043D4: 7F8803C7
	v_mul_f32_e32 v204, s46, v204                              // 0000000043D8: 0B99982E
	v_exp_f32_e32 v204, v204                                   // 0000000043DC: 7F9841CC
	v_mov_b32_e32 v201, v200                                   // 0000000043E0: 7F9203C8
	v_mov_b32_e32 v203, v202                                   // 0000000043E4: 7F9603CA
	v_mov_b32_e32 v205, v204                                   // 0000000043E8: 7F9A03CC
	s_waitcnt lgkmcnt(0)                                       // 0000000043EC: BF8CC07F
	s_barrier                                                  // 0000000043F0: BF8A0000
	ds_read_b128 v[172:175], v253 offset:4096                  // 0000000043F4: D9FE1000 AC0000FD
	ds_read_b128 v[176:179], v253 offset:4352                  // 0000000043FC: D9FE1100 B00000FD
	ds_read_b128 v[180:183], v253 offset:4608                  // 000000004404: D9FE1200 B40000FD
	ds_read_b128 v[184:187], v253 offset:4864                  // 00000000440C: D9FE1300 B80000FD
	buffer_load_dword v157, v239, s[24:27], 0 offen            // 000000004414: E0501000 80069DEF
	v_mul_f32_e32 v206, v200, v206                             // 00000000441C: 0B9D9DC8
	v_mov_b32_e32 v207, 0                                      // 000000004420: 7F9E0280
	v_pk_add_f32 v[206:207], v[4:5], v[206:207]                // 000000004424: D3B240CE 18039D04
	v_pk_add_f32 v[206:207], v[6:7], v[206:207]                // 00000000442C: D3B240CE 18039D06
	v_pk_add_f32 v[206:207], v[8:9], v[206:207]                // 000000004434: D3B240CE 18039D08
	v_pk_add_f32 v[206:207], v[10:11], v[206:207]              // 00000000443C: D3B240CE 18039D0A
	v_pk_add_f32 v[206:207], v[12:13], v[206:207]              // 000000004444: D3B240CE 18039D0C
	v_pk_add_f32 v[206:207], v[14:15], v[206:207]              // 00000000444C: D3B240CE 18039D0E
	v_pk_add_f32 v[206:207], v[16:17], v[206:207]              // 000000004454: D3B240CE 18039D10
	v_pk_add_f32 v[206:207], v[18:19], v[206:207]              // 00000000445C: D3B240CE 18039D12
	v_add_f32_e32 v206, v207, v206                             // 000000004464: 039D9DCF
	v_mul_f32_e32 v208, v202, v208                             // 000000004468: 0BA1A1CA
	v_mov_b32_e32 v209, 0                                      // 00000000446C: 7FA20280
	v_pk_add_f32 v[208:209], v[20:21], v[208:209]              // 000000004470: D3B240D0 1803A114
	v_pk_add_f32 v[208:209], v[22:23], v[208:209]              // 000000004478: D3B240D0 1803A116
	v_pk_add_f32 v[208:209], v[24:25], v[208:209]              // 000000004480: D3B240D0 1803A118
	v_pk_add_f32 v[208:209], v[26:27], v[208:209]              // 000000004488: D3B240D0 1803A11A
	v_pk_add_f32 v[208:209], v[28:29], v[208:209]              // 000000004490: D3B240D0 1803A11C
	v_pk_add_f32 v[208:209], v[30:31], v[208:209]              // 000000004498: D3B240D0 1803A11E
	v_pk_add_f32 v[208:209], v[32:33], v[208:209]              // 0000000044A0: D3B240D0 1803A120
	v_pk_add_f32 v[208:209], v[34:35], v[208:209]              // 0000000044A8: D3B240D0 1803A122
	v_add_f32_e32 v208, v209, v208                             // 0000000044B0: 03A1A1D1
	v_mul_f32_e32 v210, v204, v210                             // 0000000044B4: 0BA5A5CC
	v_mov_b32_e32 v211, 0                                      // 0000000044B8: 7FA60280
	v_pk_add_f32 v[210:211], v[36:37], v[210:211]              // 0000000044BC: D3B240D2 1803A524
	v_pk_add_f32 v[210:211], v[38:39], v[210:211]              // 0000000044C4: D3B240D2 1803A526
	v_pk_add_f32 v[210:211], v[40:41], v[210:211]              // 0000000044CC: D3B240D2 1803A528
	v_pk_add_f32 v[210:211], v[42:43], v[210:211]              // 0000000044D4: D3B240D2 1803A52A
	v_add_f32_e32 v210, v211, v210                             // 0000000044DC: 03A5A5D3
	s_waitcnt lgkmcnt(0)                                       // 0000000044E0: BF8CC07F
	v_max3_f32 v188, v172, v176, v188                          // 0000000044E4: D1D300BC 06F361AC
	v_max3_f32 v189, v173, v177, v189                          // 0000000044EC: D1D300BD 06F763AD
	v_max3_f32 v190, v174, v178, v190                          // 0000000044F4: D1D300BE 06FB65AE
	v_max3_f32 v188, v180, v184, v188                          // 0000000044FC: D1D300BC 06F371B4
	v_max3_f32 v189, v181, v185, v189                          // 000000004504: D1D300BD 06F773B5
	v_max3_f32 v190, v182, v186, v190                          // 00000000450C: D1D300BE 06FB75B6
	v_rcp_f32_e32 v188, v188                                   // 000000004514: 7F7845BC
	v_rcp_f32_e32 v189, v189                                   // 000000004518: 7F7A45BD
	v_rcp_f32_e32 v190, v190                                   // 00000000451C: 7F7C45BE
	v_mul_f32_e32 v188, 0x43700000, v188                       // 000000004520: 0B7978FF 43700000
	v_mul_f32_e32 v189, 0x43700000, v189                       // 000000004528: 0B7B7AFF 43700000
	v_mul_f32_e32 v190, 0x43700000, v190                       // 000000004530: 0B7D7CFF 43700000
	v_mov_b32_e32 v192, v190                                   // 000000004538: 7F8003BE
	v_mov_b32_e32 v193, v190                                   // 00000000453C: 7F8203BE
	v_mov_b32_e32 v190, v189                                   // 000000004540: 7F7C03BD
	v_mov_b32_e32 v191, v189                                   // 000000004544: 7F7E03BD
	v_mov_b32_e32 v189, v188                                   // 000000004548: 7F7A03BC
	v_pk_mul_f32 v[4:5], v[188:189], v[52:53]                  // 00000000454C: D3B14004 180269BC
	v_pk_mul_f32 v[6:7], v[188:189], v[54:55]                  // 000000004554: D3B14006 18026DBC
	v_pk_mul_f32 v[8:9], v[188:189], v[56:57]                  // 00000000455C: D3B14008 180271BC
	v_pk_mul_f32 v[10:11], v[188:189], v[58:59]                // 000000004564: D3B1400A 180275BC
	v_pk_mul_f32 v[12:13], v[188:189], v[60:61]                // 00000000456C: D3B1400C 180279BC
	v_pk_mul_f32 v[14:15], v[188:189], v[62:63]                // 000000004574: D3B1400E 18027DBC
	v_pk_mul_f32 v[16:17], v[188:189], v[64:65]                // 00000000457C: D3B14010 180281BC
	v_pk_mul_f32 v[18:19], v[188:189], v[66:67]                // 000000004584: D3B14012 180285BC
	v_pk_mul_f32 v[20:21], v[190:191], v[68:69]                // 00000000458C: D3B14014 180289BE
	v_pk_mul_f32 v[22:23], v[190:191], v[70:71]                // 000000004594: D3B14016 18028DBE
	v_pk_mul_f32 v[24:25], v[190:191], v[72:73]                // 00000000459C: D3B14018 180291BE
	v_pk_mul_f32 v[26:27], v[190:191], v[74:75]                // 0000000045A4: D3B1401A 180295BE
	v_pk_mul_f32 v[28:29], v[190:191], v[76:77]                // 0000000045AC: D3B1401C 180299BE
	v_pk_mul_f32 v[30:31], v[190:191], v[78:79]                // 0000000045B4: D3B1401E 18029DBE
	v_pk_mul_f32 v[32:33], v[190:191], v[80:81]                // 0000000045BC: D3B14020 1802A1BE
	v_pk_mul_f32 v[34:35], v[190:191], v[82:83]                // 0000000045C4: D3B14022 1802A5BE
	v_pk_mul_f32 v[36:37], v[192:193], v[84:85]                // 0000000045CC: D3B14024 1802A9C0
	v_pk_mul_f32 v[38:39], v[192:193], v[86:87]                // 0000000045D4: D3B14026 1802ADC0
	v_pk_mul_f32 v[40:41], v[192:193], v[88:89]                // 0000000045DC: D3B14028 1802B1C0
	v_pk_mul_f32 v[42:43], v[192:193], v[90:91]                // 0000000045E4: D3B1402A 1802B5C0
	v_cvt_pk_fp8_f32 v4, v4, v5                                // 0000000045EC: D2A20004 00020B04
	v_cvt_pk_fp8_f32 v4, v6, v7 op_sel:[0,0,1]                 // 0000000045F4: D2A24004 00020F06
	v_cvt_pk_fp8_f32 v5, v8, v9                                // 0000000045FC: D2A20005 00021308
	v_cvt_pk_fp8_f32 v5, v10, v11 op_sel:[0,0,1]               // 000000004604: D2A24005 0002170A
	v_cvt_pk_fp8_f32 v6, v12, v13                              // 00000000460C: D2A20006 00021B0C
	v_cvt_pk_fp8_f32 v6, v14, v15 op_sel:[0,0,1]               // 000000004614: D2A24006 00021F0E
	v_cvt_pk_fp8_f32 v7, v16, v17                              // 00000000461C: D2A20007 00022310
	v_cvt_pk_fp8_f32 v7, v18, v19 op_sel:[0,0,1]               // 000000004624: D2A24007 00022712
	v_cvt_pk_fp8_f32 v8, v20, v21                              // 00000000462C: D2A20008 00022B14
	v_cvt_pk_fp8_f32 v8, v22, v23 op_sel:[0,0,1]               // 000000004634: D2A24008 00022F16
	v_cvt_pk_fp8_f32 v9, v24, v25                              // 00000000463C: D2A20009 00023318
	v_cvt_pk_fp8_f32 v9, v26, v27 op_sel:[0,0,1]               // 000000004644: D2A24009 0002371A
	v_cvt_pk_fp8_f32 v10, v28, v29                             // 00000000464C: D2A2000A 00023B1C
	v_cvt_pk_fp8_f32 v10, v30, v31 op_sel:[0,0,1]              // 000000004654: D2A2400A 00023F1E
	v_cvt_pk_fp8_f32 v11, v32, v33                             // 00000000465C: D2A2000B 00024320
	v_cvt_pk_fp8_f32 v11, v34, v35 op_sel:[0,0,1]              // 000000004664: D2A2400B 00024722
	v_cvt_pk_fp8_f32 v12, v36, v37                             // 00000000466C: D2A2000C 00024B24
	v_cvt_pk_fp8_f32 v12, v38, v39 op_sel:[0,0,1]              // 000000004674: D2A2400C 00024F26
	v_cvt_pk_fp8_f32 v13, v40, v41                             // 00000000467C: D2A2000D 00025328
	v_cvt_pk_fp8_f32 v13, v42, v43 op_sel:[0,0,1]              // 000000004684: D2A2400D 0002572A
	v_mov_b32_dpp v14, v12 row_shl:8 row_mask:0xf bank_mask:0xf bound_ctrl:1// 00000000468C: 7E1C02FA FF09080C
	v_and_b32_e32 v12, v12, v224                               // 000000004694: 2619C10C
	v_mov_b32_dpp v15, v13 row_shl:8 row_mask:0xf bank_mask:0xf bound_ctrl:1// 000000004698: 7E1E02FA FF09080D
	v_and_b32_e32 v13, v13, v224                               // 0000000046A0: 261BC10D
	ds_write_b32 v254, v4 offset:8192                          // 0000000046A4: D81A2000 000004FE
	ds_write_b32 v254, v5 offset:9216                          // 0000000046AC: D81A2400 000005FE
	ds_write_b32 v254, v6 offset:10240                         // 0000000046B4: D81A2800 000006FE
	ds_write_b32 v254, v7 offset:11264                         // 0000000046BC: D81A2C00 000007FE
	ds_write_b32 v254, v8 offset:12288                         // 0000000046C4: D81A3000 000008FE
	ds_write_b32 v254, v9 offset:13312                         // 0000000046CC: D81A3400 000009FE
	ds_write_b32 v254, v10 offset:14336                        // 0000000046D4: D81A3800 00000AFE
	ds_write_b32 v254, v11 offset:15360                        // 0000000046DC: D81A3C00 00000BFE
	ds_write_b32 v254, v12 offset:16384                        // 0000000046E4: D81A4000 00000CFE
	ds_write_b32 v254, v13 offset:17408                        // 0000000046EC: D81A4400 00000DFE
	ds_write_b32 v254, v14 offset:18432                        // 0000000046F4: D81A4800 00000EFE
	ds_write_b32 v254, v15 offset:19456                        // 0000000046FC: D81A4C00 00000FFE
	v_rcp_f32_e32 v158, v188                                   // 000000004704: 7F3C45BC
	v_rcp_f32_e32 v160, v190                                   // 000000004708: 7F4045BE
	v_rcp_f32_e32 v162, v192                                   // 00000000470C: 7F4445C0
	v_mov_b32_e32 v159, v158                                   // 000000004710: 7F3E039E
	v_mov_b32_e32 v161, v160                                   // 000000004714: 7F4203A0
	v_mov_b32_e32 v163, v162                                   // 000000004718: 7F4603A2
	v_pk_add_f32 v[124:125], v[124:125], v[100:101]            // 00000000471C: D3B2407C 1802C97C
	v_pk_add_f32 v[126:127], v[126:127], v[102:103]            // 000000004724: D3B2407E 1802CD7E
	v_pk_add_f32 v[128:129], v[128:129], v[104:105]            // 00000000472C: D3B24080 1802D180
	v_pk_add_f32 v[130:131], v[130:131], v[106:107]            // 000000004734: D3B24082 1802D582
	v_pk_add_f32 v[132:133], v[132:133], v[108:109]            // 00000000473C: D3B24084 1802D984
	v_pk_add_f32 v[134:135], v[134:135], v[110:111]            // 000000004744: D3B24086 1802DD86
	v_pk_add_f32 v[136:137], v[136:137], v[112:113]            // 00000000474C: D3B24088 1802E188
	v_pk_add_f32 v[138:139], v[138:139], v[114:115]            // 000000004754: D3B2408A 1802E58A
	v_pk_add_f32 v[140:141], v[140:141], v[116:117]            // 00000000475C: D3B2408C 1802E98C
	v_pk_add_f32 v[142:143], v[142:143], v[118:119]            // 000000004764: D3B2408E 1802ED8E
	v_pk_add_f32 v[144:145], v[144:145], v[120:121]            // 00000000476C: D3B24090 1802F190
	v_pk_add_f32 v[146:147], v[146:147], v[122:123]            // 000000004774: D3B24092 1802F592
	s_waitcnt lgkmcnt(0)                                       // 00000000477C: BF8CC07F
	s_barrier                                                  // 000000004780: BF8A0000
	ds_read_b128 v[4:7], v255 offset:8192                      // 000000004784: D9FE2000 040000FF
	ds_read_b128 v[8:11], v255 offset:9216                     // 00000000478C: D9FE2400 080000FF
	ds_read_b128 v[12:15], v255 offset:10240                   // 000000004794: D9FE2800 0C0000FF
	ds_read_b128 v[16:19], v255 offset:11264                   // 00000000479C: D9FE2C00 100000FF
	ds_read_b128 v[20:23], v255 offset:12288                   // 0000000047A4: D9FE3000 140000FF
	ds_read_b128 v[24:27], v255 offset:13312                   // 0000000047AC: D9FE3400 180000FF
	ds_read_b128 v[28:31], v255 offset:14336                   // 0000000047B4: D9FE3800 1C0000FF
	ds_read_b128 v[32:35], v255 offset:15360                   // 0000000047BC: D9FE3C00 200000FF
	ds_read_b128 v[36:39], v255 offset:16384                   // 0000000047C4: D9FE4000 240000FF
	ds_read_b128 v[40:43], v255 offset:17408                   // 0000000047CC: D9FE4400 280000FF
	ds_read_b128 v[44:47], v255 offset:18432                   // 0000000047D4: D9FE4800 2C0000FF
	ds_read_b128 v[48:51], v255 offset:19456                   // 0000000047DC: D9FE4C00 300000FF
	s_waitcnt vmcnt(10)                                        // 0000000047E4: BF8C0F7A
	s_waitcnt lgkmcnt(11)                                      // 0000000047E8: BF8CCB7F
	v_mfma_f32_16x16x32_fp8_fp8 v[100:103], a[88:89], v[4:5], 0// 0000000047EC: D3F30064 0A020958
	s_lshl_b32 s68, s76, 2                                     // 0000000047F4: 8E44824C
	v_mfma_f32_16x16x32_fp8_fp8 v[104:107], a[104:105], v[4:5], 0// 0000000047F8: D3F30068 0A020968
	s_cmp_lt_u32 s76, s77                                      // 000000004800: BF0A4D4C
	s_cselect_b32 s68, s68, 0                                  // 000000004804: 85448044
	v_mfma_f32_16x16x32_fp8_fp8 v[100:103], a[90:91], v[6:7], v[100:103]// 000000004808: D3F30064 0D920D5A
	buffer_load_dwordx4 a[120:123], v234, s[16:19], 0 offen    // 000000004810: E05C1000 808478EA
	v_mfma_f32_16x16x32_fp8_fp8 v[104:107], a[106:107], v[6:7], v[104:107]// 000000004818: D3F30068 0DA20D6A
	s_addk_i32 s76, 0x1                                        // 000000004820: B74C0001
	s_waitcnt lgkmcnt(10)                                      // 000000004824: BF8CCA7F
	v_mfma_f32_16x16x32_fp8_fp8 v[100:103], a[92:93], v[8:9], v[100:103]// 000000004828: D3F30064 0D92115C
	v_mfma_f32_16x16x32_fp8_fp8 v[104:107], a[108:109], v[8:9], v[104:107]// 000000004830: D3F30068 0DA2116C
	v_mfma_f32_16x16x32_fp8_fp8 v[100:103], a[94:95], v[10:11], v[100:103]// 000000004838: D3F30064 0D92155E
	buffer_load_dwordx4 a[124:127], v235, s[16:19], 0 offen    // 000000004840: E05C1000 80847CEB
	v_mfma_f32_16x16x32_fp8_fp8 v[104:107], a[110:111], v[10:11], v[104:107]// 000000004848: D3F30068 0DA2156E
	s_waitcnt lgkmcnt(9)                                       // 000000004850: BF8CC97F
	v_mfma_f32_16x16x32_fp8_fp8 v[100:103], a[96:97], v[12:13], v[100:103]// 000000004854: D3F30064 0D921960
	v_mfma_f32_16x16x32_fp8_fp8 v[104:107], a[112:113], v[12:13], v[104:107]// 00000000485C: D3F30068 0DA21970
	v_mfma_f32_16x16x32_fp8_fp8 v[100:103], a[98:99], v[14:15], v[100:103]// 000000004864: D3F30064 0D921D62
	buffer_load_dwordx4 a[128:131], v236, s[16:19], 0 offen    // 00000000486C: E05C1000 808480EC
	v_mfma_f32_16x16x32_fp8_fp8 v[104:107], a[114:115], v[14:15], v[104:107]// 000000004874: D3F30068 0DA21D72
	s_waitcnt lgkmcnt(8)                                       // 00000000487C: BF8CC87F
	v_mfma_f32_16x16x32_fp8_fp8 v[100:103], a[100:101], v[16:17], v[100:103]// 000000004880: D3F30064 0D922164
	v_mfma_f32_16x16x32_fp8_fp8 v[104:107], a[116:117], v[16:17], v[104:107]// 000000004888: D3F30068 0DA22174
	v_mfma_f32_16x16x32_fp8_fp8 v[100:103], a[102:103], v[18:19], v[100:103]// 000000004890: D3F30064 0D922566
	buffer_load_dwordx4 a[132:135], v237, s[16:19], 0 offen    // 000000004898: E05C1000 808484ED
	v_mfma_f32_16x16x32_fp8_fp8 v[104:107], a[118:119], v[18:19], v[104:107]// 0000000048A0: D3F30068 0DA22576
	s_waitcnt lgkmcnt(7)                                       // 0000000048A8: BF8CC77F
	v_mfma_f32_16x16x32_fp8_fp8 v[108:111], a[88:89], v[20:21], 0// 0000000048AC: D3F3006C 0A022958
	v_mfma_f32_16x16x32_fp8_fp8 v[112:115], a[104:105], v[20:21], 0// 0000000048B4: D3F30070 0A022968
	v_mfma_f32_16x16x32_fp8_fp8 v[108:111], a[90:91], v[22:23], v[108:111]// 0000000048BC: D3F3006C 0DB22D5A
	buffer_load_dwordx4 a[136:139], v234, s[16:19], 0 offen offset:1024// 0000000048C4: E05C1400 808488EA
	v_mfma_f32_16x16x32_fp8_fp8 v[112:115], a[106:107], v[22:23], v[112:115]// 0000000048CC: D3F30070 0DC22D6A
	s_waitcnt lgkmcnt(6)                                       // 0000000048D4: BF8CC67F
	v_mfma_f32_16x16x32_fp8_fp8 v[108:111], a[92:93], v[24:25], v[108:111]// 0000000048D8: D3F3006C 0DB2315C
	v_mfma_f32_16x16x32_fp8_fp8 v[112:115], a[108:109], v[24:25], v[112:115]// 0000000048E0: D3F30070 0DC2316C
	v_mfma_f32_16x16x32_fp8_fp8 v[108:111], a[94:95], v[26:27], v[108:111]// 0000000048E8: D3F3006C 0DB2355E
	buffer_load_dwordx4 a[140:143], v235, s[16:19], 0 offen offset:1024// 0000000048F0: E05C1400 80848CEB
	v_mfma_f32_16x16x32_fp8_fp8 v[112:115], a[110:111], v[26:27], v[112:115]// 0000000048F8: D3F30070 0DC2356E
	s_waitcnt lgkmcnt(5)                                       // 000000004900: BF8CC57F
	v_mfma_f32_16x16x32_fp8_fp8 v[108:111], a[96:97], v[28:29], v[108:111]// 000000004904: D3F3006C 0DB23960
	v_mfma_f32_16x16x32_fp8_fp8 v[112:115], a[112:113], v[28:29], v[112:115]// 00000000490C: D3F30070 0DC23970
	v_mfma_f32_16x16x32_fp8_fp8 v[108:111], a[98:99], v[30:31], v[108:111]// 000000004914: D3F3006C 0DB23D62
	buffer_load_dwordx4 a[144:147], v236, s[16:19], 0 offen offset:1024// 00000000491C: E05C1400 808490EC
	v_mfma_f32_16x16x32_fp8_fp8 v[112:115], a[114:115], v[30:31], v[112:115]// 000000004924: D3F30070 0DC23D72
	s_waitcnt lgkmcnt(4)                                       // 00000000492C: BF8CC47F
	v_mfma_f32_16x16x32_fp8_fp8 v[108:111], a[100:101], v[32:33], v[108:111]// 000000004930: D3F3006C 0DB24164
	v_mfma_f32_16x16x32_fp8_fp8 v[112:115], a[116:117], v[32:33], v[112:115]// 000000004938: D3F30070 0DC24174
	v_mfma_f32_16x16x32_fp8_fp8 v[108:111], a[102:103], v[34:35], v[108:111]// 000000004940: D3F3006C 0DB24566
	buffer_load_dwordx4 a[148:151], v237, s[16:19], 0 offen offset:1024// 000000004948: E05C1400 808494ED
	v_mfma_f32_16x16x32_fp8_fp8 v[112:115], a[118:119], v[34:35], v[112:115]// 000000004950: D3F30070 0DC24576
	s_waitcnt lgkmcnt(3)                                       // 000000004958: BF8CC37F
	v_mfma_f32_16x16x32_fp8_fp8 v[116:119], a[88:89], v[36:37], 0// 00000000495C: D3F30074 0A024958
	v_mfma_f32_16x16x32_fp8_fp8 v[120:123], a[104:105], v[36:37], 0// 000000004964: D3F30078 0A024968
	v_mfma_f32_16x16x32_fp8_fp8 v[116:119], a[90:91], v[38:39], v[116:119]// 00000000496C: D3F30074 0DD24D5A
	v_mfma_f32_16x16x32_fp8_fp8 v[120:123], a[106:107], v[38:39], v[120:123]// 000000004974: D3F30078 0DE24D6A
	s_waitcnt lgkmcnt(2)                                       // 00000000497C: BF8CC27F
	v_mfma_f32_16x16x32_fp8_fp8 v[116:119], a[92:93], v[40:41], v[116:119]// 000000004980: D3F30074 0DD2515C
	v_mfma_f32_16x16x32_fp8_fp8 v[120:123], a[108:109], v[40:41], v[120:123]// 000000004988: D3F30078 0DE2516C
	v_mfma_f32_16x16x32_fp8_fp8 v[116:119], a[94:95], v[42:43], v[116:119]// 000000004990: D3F30074 0DD2555E
	v_mfma_f32_16x16x32_fp8_fp8 v[120:123], a[110:111], v[42:43], v[120:123]// 000000004998: D3F30078 0DE2556E
	s_waitcnt lgkmcnt(1)                                       // 0000000049A0: BF8CC17F
	v_mfma_f32_16x16x32_fp8_fp8 v[116:119], a[96:97], v[44:45], v[116:119]// 0000000049A4: D3F30074 0DD25960
	v_mfma_f32_16x16x32_fp8_fp8 v[120:123], a[112:113], v[44:45], v[120:123]// 0000000049AC: D3F30078 0DE25970
	v_mfma_f32_16x16x32_fp8_fp8 v[116:119], a[98:99], v[46:47], v[116:119]// 0000000049B4: D3F30074 0DD25D62
	v_mfma_f32_16x16x32_fp8_fp8 v[120:123], a[114:115], v[46:47], v[120:123]// 0000000049BC: D3F30078 0DE25D72
	s_waitcnt lgkmcnt(0)                                       // 0000000049C4: BF8CC07F
	v_mfma_f32_16x16x32_fp8_fp8 v[116:119], a[100:101], v[48:49], v[116:119]// 0000000049C8: D3F30074 0DD26164
	v_mfma_f32_16x16x32_fp8_fp8 v[120:123], a[116:117], v[48:49], v[120:123]// 0000000049D0: D3F30078 0DE26174
	v_mfma_f32_16x16x32_fp8_fp8 v[116:119], a[102:103], v[50:51], v[116:119]// 0000000049D8: D3F30074 0DD26566
	v_mfma_f32_16x16x32_fp8_fp8 v[120:123], a[118:119], v[50:51], v[120:123]// 0000000049E0: D3F30078 0DE26576
	s_load_dword s59, s[42:43], s68                            // 0000000049E8: C0000ED5 00000044
	s_addk_i32 s64, 0x100                                      // 0000000049F0: B7400100
	s_cmp_lt_i32 s64, s63                                      // 0000000049F4: BF043F40
	s_cbranch_scc0 label_2DCC                                  // 0000000049F8: BF84254D
	s_waitcnt vmcnt(10)                                        // 0000000049FC: BF8C0F7A
	v_mfma_f32_16x16x32_fp8_fp8 v[4:7], a[56:57], a[0:1], 0    // 000000004A00: D3F30004 1A020138
	s_add_u32 s12, s86, s69                                    // 000000004A08: 800C4556
	s_addc_u32 s13, s87, 0                                     // 000000004A0C: 820D8057
	v_mfma_f32_16x16x32_fp8_fp8 v[4:7], a[58:59], a[2:3], v[4:7]// 000000004A10: D3F30004 1C12053A
	s_add_u32 s16, s88, s70                                    // 000000004A18: 80104658
	s_addc_u32 s17, s89, 0                                     // 000000004A1C: 82118059
	v_mfma_f32_16x16x32_fp8_fp8 v[4:7], a[60:61], a[4:5], v[4:7]// 000000004A20: D3F30004 1C12093C
	buffer_load_dwordx4 a[24:27], v232, s[12:15], 0 offen      // 000000004A28: E05C1000 808318E8
	v_mfma_f32_16x16x32_fp8_fp8 v[4:7], a[62:63], a[6:7], v[4:7]// 000000004A30: D3F30004 1C120D3E
	s_add_u32 s20, s90, s71                                    // 000000004A38: 8014475A
	s_addc_u32 s21, s91, 0                                     // 000000004A3C: 8215805B
	v_mfma_f32_16x16x32_fp8_fp8 v[8:11], a[64:65], a[0:1], 0   // 000000004A40: D3F30008 1A020140
	s_add_u32 s24, s92, s71                                    // 000000004A48: 8018475C
	s_addc_u32 s25, s93, 0                                     // 000000004A4C: 8219805D
	v_mfma_f32_16x16x32_fp8_fp8 v[8:11], a[66:67], a[2:3], v[8:11]// 000000004A50: D3F30008 1C220542
	s_add_u32 s69, s69, 0x1000                                 // 000000004A58: 8045FF45 00001000
	s_add_u32 s70, s70, 0x8000                                 // 000000004A60: 8046FF46 00008000
	v_mfma_f32_16x16x32_fp8_fp8 v[8:11], a[68:69], a[4:5], v[8:11]// 000000004A68: D3F30008 1C220944
	buffer_load_dwordx4 a[28:31], v233, s[12:15], 0 offen      // 000000004A70: E05C1000 80831CE9
	v_mfma_f32_16x16x32_fp8_fp8 v[8:11], a[70:71], a[6:7], v[8:11]// 000000004A78: D3F30008 1C220D46
	s_add_u32 s71, s71, 0x400                                  // 000000004A80: 8047FF47 00000400
	v_mfma_f32_16x16x32_fp8_fp8 v[12:15], a[72:73], a[0:1], 0  // 000000004A88: D3F3000C 1A020148
	v_mfma_f32_16x16x32_fp8_fp8 v[12:15], a[74:75], a[2:3], v[12:15]// 000000004A90: D3F3000C 1C32054A
	v_mfma_f32_16x16x32_fp8_fp8 v[12:15], a[76:77], a[4:5], v[12:15]// 000000004A98: D3F3000C 1C32094C
	buffer_load_dwordx4 a[32:35], v232, s[12:15], 0 offen offset:1024// 000000004AA0: E05C1400 808320E8
	v_mfma_f32_16x16x32_fp8_fp8 v[12:15], a[78:79], a[6:7], v[12:15]// 000000004AA8: D3F3000C 1C320D4E
	v_mfma_f32_16x16x32_fp8_fp8 v[16:19], a[80:81], a[0:1], 0  // 000000004AB0: D3F30010 1A020150
	v_mfma_f32_16x16x32_fp8_fp8 v[16:19], a[82:83], a[2:3], v[16:19]// 000000004AB8: D3F30010 1C420552
	v_mfma_f32_16x16x32_fp8_fp8 v[16:19], a[84:85], a[4:5], v[16:19]// 000000004AC0: D3F30010 1C420954
	buffer_load_dwordx4 a[36:39], v233, s[12:15], 0 offen offset:1024// 000000004AC8: E05C1400 808324E9
	v_mfma_f32_16x16x32_fp8_fp8 v[16:19], a[86:87], a[6:7], v[16:19]// 000000004AD0: D3F30010 1C420D56
	v_mfma_f32_16x16x32_fp8_fp8 v[20:23], a[56:57], a[8:9], 0  // 000000004AD8: D3F30014 1A021138
	v_mfma_f32_16x16x32_fp8_fp8 v[20:23], a[58:59], a[10:11], v[20:23]// 000000004AE0: D3F30014 1C52153A
	v_mfma_f32_16x16x32_fp8_fp8 v[20:23], a[60:61], a[12:13], v[20:23]// 000000004AE8: D3F30014 1C52193C
	buffer_load_dwordx4 a[40:43], v232, s[12:15], 0 offen offset:2048// 000000004AF0: E05C1800 808328E8
	v_mfma_f32_16x16x32_fp8_fp8 v[20:23], a[62:63], a[14:15], v[20:23]// 000000004AF8: D3F30014 1C521D3E
	v_mfma_f32_16x16x32_fp8_fp8 v[24:27], a[64:65], a[8:9], 0  // 000000004B00: D3F30018 1A021140
	v_mfma_f32_16x16x32_fp8_fp8 v[24:27], a[66:67], a[10:11], v[24:27]// 000000004B08: D3F30018 1C621542
	v_mfma_f32_16x16x32_fp8_fp8 v[24:27], a[68:69], a[12:13], v[24:27]// 000000004B10: D3F30018 1C621944
	buffer_load_dwordx4 a[44:47], v233, s[12:15], 0 offen offset:2048// 000000004B18: E05C1800 80832CE9
	v_mfma_f32_16x16x32_fp8_fp8 v[24:27], a[70:71], a[14:15], v[24:27]// 000000004B20: D3F30018 1C621D46
	v_mfma_f32_16x16x32_fp8_fp8 v[28:31], a[72:73], a[8:9], 0  // 000000004B28: D3F3001C 1A021148
	v_mfma_f32_16x16x32_fp8_fp8 v[28:31], a[74:75], a[10:11], v[28:31]// 000000004B30: D3F3001C 1C72154A
	v_mfma_f32_16x16x32_fp8_fp8 v[28:31], a[76:77], a[12:13], v[28:31]// 000000004B38: D3F3001C 1C72194C
	buffer_load_dwordx4 a[48:51], v232, s[12:15], 0 offen offset:3072// 000000004B40: E05C1C00 808330E8
	v_mfma_f32_16x16x32_fp8_fp8 v[28:31], a[78:79], a[14:15], v[28:31]// 000000004B48: D3F3001C 1C721D4E
	v_mfma_f32_16x16x32_fp8_fp8 v[32:35], a[80:81], a[8:9], 0  // 000000004B50: D3F30020 1A021150
	v_mfma_f32_16x16x32_fp8_fp8 v[32:35], a[82:83], a[10:11], v[32:35]// 000000004B58: D3F30020 1C821552
	v_mfma_f32_16x16x32_fp8_fp8 v[32:35], a[84:85], a[12:13], v[32:35]// 000000004B60: D3F30020 1C821954
	buffer_load_dwordx4 a[52:55], v233, s[12:15], 0 offen offset:3072// 000000004B68: E05C1C00 808334E9
	v_mfma_f32_16x16x32_fp8_fp8 v[32:35], a[86:87], a[14:15], v[32:35]// 000000004B70: D3F30020 1C821D56
	v_mfma_f32_16x16x32_fp8_fp8 v[36:39], a[56:57], a[16:17], 0// 000000004B78: D3F30024 1A022138
	v_mfma_f32_16x16x32_fp8_fp8 v[36:39], a[58:59], a[18:19], v[36:39]// 000000004B80: D3F30024 1C92253A
	v_mfma_f32_16x16x32_fp8_fp8 v[36:39], a[60:61], a[20:21], v[36:39]// 000000004B88: D3F30024 1C92293C
	v_mfma_f32_16x16x32_fp8_fp8 v[36:39], a[62:63], a[22:23], v[36:39]// 000000004B90: D3F30024 1C922D3E
	v_mfma_f32_16x16x32_fp8_fp8 v[40:43], a[64:65], a[16:17], 0// 000000004B98: D3F30028 1A022140
	v_mfma_f32_16x16x32_fp8_fp8 v[40:43], a[66:67], a[18:19], v[40:43]// 000000004BA0: D3F30028 1CA22542
	v_mfma_f32_16x16x32_fp8_fp8 v[40:43], a[68:69], a[20:21], v[40:43]// 000000004BA8: D3F30028 1CA22944
	v_mfma_f32_16x16x32_fp8_fp8 v[40:43], a[70:71], a[22:23], v[40:43]// 000000004BB0: D3F30028 1CA22D46
	v_mfma_f32_16x16x32_fp8_fp8 v[44:47], a[72:73], a[16:17], 0// 000000004BB8: D3F3002C 1A022148
	v_mfma_f32_16x16x32_fp8_fp8 v[44:47], a[74:75], a[18:19], v[44:47]// 000000004BC0: D3F3002C 1CB2254A
	v_mfma_f32_16x16x32_fp8_fp8 v[44:47], a[76:77], a[20:21], v[44:47]// 000000004BC8: D3F3002C 1CB2294C
	v_mfma_f32_16x16x32_fp8_fp8 v[44:47], a[78:79], a[22:23], v[44:47]// 000000004BD0: D3F3002C 1CB22D4E
	v_mfma_f32_16x16x32_fp8_fp8 v[48:51], a[80:81], a[16:17], 0// 000000004BD8: D3F30030 1A022150
	v_mfma_f32_16x16x32_fp8_fp8 v[48:51], a[82:83], a[18:19], v[48:51]// 000000004BE0: D3F30030 1CC22552
	v_mfma_f32_16x16x32_fp8_fp8 v[48:51], a[84:85], a[20:21], v[48:51]// 000000004BE8: D3F30030 1CC22954
	v_mfma_f32_16x16x32_fp8_fp8 v[48:51], a[86:87], a[22:23], v[48:51]// 000000004BF0: D3F30030 1CC22D56
	s_waitcnt vmcnt(16)                                        // 000000004BF8: BF8C4F70
	v_or_b32_dpp v36, v44, v36 row_shr:8 row_mask:0xf bank_mask:0xf bound_ctrl:1// 000000004BFC: 284848FA FF09182C
	v_or_b32_dpp v37, v45, v37 row_shr:8 row_mask:0xf bank_mask:0xf bound_ctrl:1// 000000004C04: 284A4AFA FF09182D
	v_or_b32_dpp v38, v46, v38 row_shr:8 row_mask:0xf bank_mask:0xf bound_ctrl:1// 000000004C0C: 284C4CFA FF09182E
	v_or_b32_dpp v39, v47, v39 row_shr:8 row_mask:0xf bank_mask:0xf bound_ctrl:1// 000000004C14: 284E4EFA FF09182F
	v_or_b32_dpp v40, v48, v40 row_shr:8 row_mask:0xf bank_mask:0xf bound_ctrl:1// 000000004C1C: 285050FA FF091830
	v_or_b32_dpp v41, v49, v41 row_shr:8 row_mask:0xf bank_mask:0xf bound_ctrl:1// 000000004C24: 285252FA FF091831
	v_or_b32_dpp v42, v50, v42 row_shr:8 row_mask:0xf bank_mask:0xf bound_ctrl:1// 000000004C2C: 285454FA FF091832
	v_or_b32_dpp v43, v51, v43 row_shr:8 row_mask:0xf bank_mask:0xf bound_ctrl:1// 000000004C34: 285656FA FF091833
	v_mov_b32_dpp v168, v155 row_shr:4 row_mask:0xf bank_mask:0xf// 000000004C3C: 7F5002FA FF01149B
	v_mov_b32_dpp v169, v155 row_shl:4 row_mask:0xf bank_mask:0xf// 000000004C44: 7F5202FA FF01049B
	v_cndmask_b32_e64 v164, v155, v168, s[2:3]                 // 000000004C4C: D10000A4 000B519B
	v_cndmask_b32_e64 v165, v169, v155, s[2:3]                 // 000000004C54: D10000A5 000B37A9
	v_mov_b32_dpp v168, v157 row_shr:4 row_mask:0xf bank_mask:0xf// 000000004C5C: 7F5002FA FF01149D
	v_mov_b32_dpp v169, v157 row_shl:4 row_mask:0xf bank_mask:0xf// 000000004C64: 7F5202FA FF01049D
	v_cndmask_b32_e64 v166, v157, v168, s[2:3]                 // 000000004C6C: D10000A6 000B519D
	v_cndmask_b32_e64 v167, v169, v157, s[2:3]                 // 000000004C74: D10000A7 000B3BA9
	v_pk_mul_f32 v[4:5], v[148:149], v[4:5]                    // 000000004C7C: D3B14004 18020994
	v_pk_mul_f32 v[6:7], v[148:149], v[6:7]                    // 000000004C84: D3B14006 18020D94
	v_pk_mul_f32 v[8:9], v[148:149], v[8:9]                    // 000000004C8C: D3B14008 18021194
	v_pk_mul_f32 v[10:11], v[148:149], v[10:11]                // 000000004C94: D3B1400A 18021594
	v_pk_mul_f32 v[12:13], v[148:149], v[12:13]                // 000000004C9C: D3B1400C 18021994
	v_pk_mul_f32 v[14:15], v[148:149], v[14:15]                // 000000004CA4: D3B1400E 18021D94
	v_pk_mul_f32 v[16:17], v[148:149], v[16:17]                // 000000004CAC: D3B14010 18022194
	v_pk_mul_f32 v[18:19], v[148:149], v[18:19]                // 000000004CB4: D3B14012 18022594
	v_mul_f32_dpp v4, v155, v4 row_newbcast:0 row_mask:0xf bank_mask:0xf// 000000004CBC: 0A0808FA FF01509B
	v_mul_f32_dpp v5, v155, v5 row_newbcast:1 row_mask:0xf bank_mask:0xf// 000000004CC4: 0A0A0AFA FF01519B
	v_mul_f32_dpp v6, v155, v6 row_newbcast:2 row_mask:0xf bank_mask:0xf// 000000004CCC: 0A0C0CFA FF01529B
	v_mul_f32_dpp v7, v155, v7 row_newbcast:3 row_mask:0xf bank_mask:0xf// 000000004CD4: 0A0E0EFA FF01539B
	v_mul_f32_dpp v8, v155, v8 row_newbcast:4 row_mask:0xf bank_mask:0xf// 000000004CDC: 0A1010FA FF01549B
	v_mul_f32_dpp v9, v155, v9 row_newbcast:5 row_mask:0xf bank_mask:0xf// 000000004CE4: 0A1212FA FF01559B
	v_mul_f32_dpp v10, v155, v10 row_newbcast:6 row_mask:0xf bank_mask:0xf// 000000004CEC: 0A1414FA FF01569B
	v_mul_f32_dpp v11, v155, v11 row_newbcast:7 row_mask:0xf bank_mask:0xf// 000000004CF4: 0A1616FA FF01579B
	v_mul_f32_dpp v12, v155, v12 row_newbcast:8 row_mask:0xf bank_mask:0xf// 000000004CFC: 0A1818FA FF01589B
	v_mul_f32_dpp v13, v155, v13 row_newbcast:9 row_mask:0xf bank_mask:0xf// 000000004D04: 0A1A1AFA FF01599B
	v_mul_f32_dpp v14, v155, v14 row_newbcast:10 row_mask:0xf bank_mask:0xf// 000000004D0C: 0A1C1CFA FF015A9B
	v_mul_f32_dpp v15, v155, v15 row_newbcast:11 row_mask:0xf bank_mask:0xf// 000000004D14: 0A1E1EFA FF015B9B
	v_mul_f32_dpp v16, v155, v16 row_newbcast:12 row_mask:0xf bank_mask:0xf// 000000004D1C: 0A2020FA FF015C9B
	v_mul_f32_dpp v17, v155, v17 row_newbcast:13 row_mask:0xf bank_mask:0xf// 000000004D24: 0A2222FA FF015D9B
	v_mul_f32_dpp v18, v155, v18 row_newbcast:14 row_mask:0xf bank_mask:0xf// 000000004D2C: 0A2424FA FF015E9B
	v_mul_f32_dpp v19, v155, v19 row_newbcast:15 row_mask:0xf bank_mask:0xf// 000000004D34: 0A2626FA FF015F9B
	v_pk_mul_f32 v[20:21], v[150:151], v[20:21]                // 000000004D3C: D3B14014 18022996
	v_pk_mul_f32 v[22:23], v[150:151], v[22:23]                // 000000004D44: D3B14016 18022D96
	v_pk_mul_f32 v[24:25], v[150:151], v[24:25]                // 000000004D4C: D3B14018 18023196
	v_pk_mul_f32 v[26:27], v[150:151], v[26:27]                // 000000004D54: D3B1401A 18023596
	v_pk_mul_f32 v[28:29], v[150:151], v[28:29]                // 000000004D5C: D3B1401C 18023996
	v_pk_mul_f32 v[30:31], v[150:151], v[30:31]                // 000000004D64: D3B1401E 18023D96
	v_pk_mul_f32 v[32:33], v[150:151], v[32:33]                // 000000004D6C: D3B14020 18024196
	v_pk_mul_f32 v[34:35], v[150:151], v[34:35]                // 000000004D74: D3B14022 18024596
	v_mul_f32_dpp v20, v155, v20 row_newbcast:0 row_mask:0xf bank_mask:0xf// 000000004D7C: 0A2828FA FF01509B
	v_mul_f32_dpp v21, v155, v21 row_newbcast:1 row_mask:0xf bank_mask:0xf// 000000004D84: 0A2A2AFA FF01519B
	v_mul_f32_dpp v22, v155, v22 row_newbcast:2 row_mask:0xf bank_mask:0xf// 000000004D8C: 0A2C2CFA FF01529B
	v_mul_f32_dpp v23, v155, v23 row_newbcast:3 row_mask:0xf bank_mask:0xf// 000000004D94: 0A2E2EFA FF01539B
	v_mul_f32_dpp v24, v155, v24 row_newbcast:4 row_mask:0xf bank_mask:0xf// 000000004D9C: 0A3030FA FF01549B
	v_mul_f32_dpp v25, v155, v25 row_newbcast:5 row_mask:0xf bank_mask:0xf// 000000004DA4: 0A3232FA FF01559B
	v_mul_f32_dpp v26, v155, v26 row_newbcast:6 row_mask:0xf bank_mask:0xf// 000000004DAC: 0A3434FA FF01569B
	v_mul_f32_dpp v27, v155, v27 row_newbcast:7 row_mask:0xf bank_mask:0xf// 000000004DB4: 0A3636FA FF01579B
	v_mul_f32_dpp v28, v155, v28 row_newbcast:8 row_mask:0xf bank_mask:0xf// 000000004DBC: 0A3838FA FF01589B
	v_mul_f32_dpp v29, v155, v29 row_newbcast:9 row_mask:0xf bank_mask:0xf// 000000004DC4: 0A3A3AFA FF01599B
	v_mul_f32_dpp v30, v155, v30 row_newbcast:10 row_mask:0xf bank_mask:0xf// 000000004DCC: 0A3C3CFA FF015A9B
	v_mul_f32_dpp v31, v155, v31 row_newbcast:11 row_mask:0xf bank_mask:0xf// 000000004DD4: 0A3E3EFA FF015B9B
	v_mul_f32_dpp v32, v155, v32 row_newbcast:12 row_mask:0xf bank_mask:0xf// 000000004DDC: 0A4040FA FF015C9B
	v_mul_f32_dpp v33, v155, v33 row_newbcast:13 row_mask:0xf bank_mask:0xf// 000000004DE4: 0A4242FA FF015D9B
	v_mul_f32_dpp v34, v155, v34 row_newbcast:14 row_mask:0xf bank_mask:0xf// 000000004DEC: 0A4444FA FF015E9B
	v_mul_f32_dpp v35, v155, v35 row_newbcast:15 row_mask:0xf bank_mask:0xf// 000000004DF4: 0A4646FA FF015F9B
	v_pk_mul_f32 v[36:37], v[152:153], v[36:37]                // 000000004DFC: D3B14024 18024998
	v_pk_mul_f32 v[38:39], v[152:153], v[38:39]                // 000000004E04: D3B14026 18024D98
	v_pk_mul_f32 v[40:41], v[152:153], v[40:41]                // 000000004E0C: D3B14028 18025198
	v_pk_mul_f32 v[42:43], v[152:153], v[42:43]                // 000000004E14: D3B1402A 18025598
	v_mul_f32_dpp v36, v164, v36 quad_perm:[0,0,0,0] row_mask:0xf bank_mask:0xf// 000000004E1C: 0A4848FA FF0000A4
	v_mul_f32_dpp v37, v164, v37 quad_perm:[1,1,1,1] row_mask:0xf bank_mask:0xf// 000000004E24: 0A4A4AFA FF0055A4
	v_mul_f32_dpp v38, v164, v38 quad_perm:[2,2,2,2] row_mask:0xf bank_mask:0xf// 000000004E2C: 0A4C4CFA FF00AAA4
	v_mul_f32_dpp v39, v164, v39 quad_perm:[3,3,3,3] row_mask:0xf bank_mask:0xf// 000000004E34: 0A4E4EFA FF00FFA4
	v_mul_f32_dpp v40, v165, v40 quad_perm:[0,0,0,0] row_mask:0xf bank_mask:0xf// 000000004E3C: 0A5050FA FF0000A5
	v_mul_f32_dpp v41, v165, v41 quad_perm:[1,1,1,1] row_mask:0xf bank_mask:0xf// 000000004E44: 0A5252FA FF0055A5
	v_mul_f32_dpp v42, v165, v42 quad_perm:[2,2,2,2] row_mask:0xf bank_mask:0xf// 000000004E4C: 0A5454FA FF00AAA5
	v_mul_f32_dpp v43, v165, v43 quad_perm:[3,3,3,3] row_mask:0xf bank_mask:0xf// 000000004E54: 0A5656FA FF00FFA5
	v_mov_b32_e32 v190, v36                                    // 000000004E5C: 7F7C0324
	v_max3_f32 v190, v36, v37, v190                            // 000000004E60: D1D300BE 06FA4B24
	v_max3_f32 v190, v38, v39, v190                            // 000000004E68: D1D300BE 06FA4F26
	v_max3_f32 v190, v40, v41, v190                            // 000000004E70: D1D300BE 06FA5328
	v_max3_f32 v190, v42, v43, v190                            // 000000004E78: D1D300BE 06FA572A
	v_mov_b32_e32 v189, v20                                    // 000000004E80: 7F7A0314
	v_max3_f32 v189, v20, v21, v189                            // 000000004E84: D1D300BD 06F62B14
	v_max3_f32 v189, v22, v23, v189                            // 000000004E8C: D1D300BD 06F62F16
	v_max3_f32 v189, v24, v25, v189                            // 000000004E94: D1D300BD 06F63318
	v_max3_f32 v189, v26, v27, v189                            // 000000004E9C: D1D300BD 06F6371A
	v_max3_f32 v189, v28, v29, v189                            // 000000004EA4: D1D300BD 06F63B1C
	v_max3_f32 v189, v30, v31, v189                            // 000000004EAC: D1D300BD 06F63F1E
	v_max3_f32 v189, v32, v33, v189                            // 000000004EB4: D1D300BD 06F64320
	v_max3_f32 v189, v34, v35, v189                            // 000000004EBC: D1D300BD 06F64722
	v_mov_b32_e32 v188, v4                                     // 000000004EC4: 7F780304
	v_max3_f32 v188, v4, v5, v188                              // 000000004EC8: D1D300BC 06F20B04
	v_max3_f32 v188, v6, v7, v188                              // 000000004ED0: D1D300BC 06F20F06
	v_max3_f32 v188, v8, v9, v188                              // 000000004ED8: D1D300BC 06F21308
	v_max3_f32 v188, v10, v11, v188                            // 000000004EE0: D1D300BC 06F2170A
	v_max3_f32 v188, v12, v13, v188                            // 000000004EE8: D1D300BC 06F21B0C
	v_max3_f32 v188, v14, v15, v188                            // 000000004EF0: D1D300BC 06F21F0E
	v_max3_f32 v188, v16, v17, v188                            // 000000004EF8: D1D300BC 06F22310
	v_max3_f32 v188, v18, v19, v188                            // 000000004F00: D1D300BC 06F22712
	v_max_f32_dpp v190, v190, v190 row_ror:8 row_mask:0xf bank_mask:0xf// 000000004F08: 177D7CFA FF0128BE
	ds_bpermute_b32 v172, v212, v188                           // 000000004F10: D87E0000 AC00BCD4
	ds_bpermute_b32 v173, v213, v188                           // 000000004F18: D87E0000 AD00BCD5
	ds_bpermute_b32 v174, v214, v188                           // 000000004F20: D87E0000 AE00BCD6
	ds_bpermute_b32 v175, v212, v189                           // 000000004F28: D87E0000 AF00BDD4
	ds_bpermute_b32 v176, v213, v189                           // 000000004F30: D87E0000 B000BDD5
	ds_bpermute_b32 v177, v214, v189                           // 000000004F38: D87E0000 B100BDD6
	ds_bpermute_b32 v178, v212, v190                           // 000000004F40: D87E0000 B200BED4
	ds_bpermute_b32 v179, v213, v190                           // 000000004F48: D87E0000 B300BED5
	ds_bpermute_b32 v180, v214, v190                           // 000000004F50: D87E0000 B400BED6
	v_pk_mul_f32 v[124:125], v[200:201], v[124:125]            // 000000004F58: D3B1407C 1802F9C8
	v_pk_mul_f32 v[126:127], v[200:201], v[126:127]            // 000000004F60: D3B1407E 1802FDC8
	v_pk_mul_f32 v[128:129], v[200:201], v[128:129]            // 000000004F68: D3B14080 180301C8
	v_pk_mul_f32 v[130:131], v[200:201], v[130:131]            // 000000004F70: D3B14082 180305C8
	v_pk_mul_f32 v[132:133], v[202:203], v[132:133]            // 000000004F78: D3B14084 180309CA
	v_pk_mul_f32 v[134:135], v[202:203], v[134:135]            // 000000004F80: D3B14086 18030DCA
	v_pk_mul_f32 v[136:137], v[202:203], v[136:137]            // 000000004F88: D3B14088 180311CA
	v_pk_mul_f32 v[138:139], v[202:203], v[138:139]            // 000000004F90: D3B1408A 180315CA
	v_pk_mul_f32 v[140:141], v[204:205], v[140:141]            // 000000004F98: D3B1408C 180319CC
	v_pk_mul_f32 v[142:143], v[204:205], v[142:143]            // 000000004FA0: D3B1408E 18031DCC
	v_pk_mul_f32 v[144:145], v[204:205], v[144:145]            // 000000004FA8: D3B14090 180321CC
	v_pk_mul_f32 v[146:147], v[204:205], v[146:147]            // 000000004FB0: D3B14092 180325CC
	s_waitcnt lgkmcnt(6)                                       // 000000004FB8: BF8CC67F
	v_max3_f32 v188, v172, v173, v188                          // 000000004FBC: D1D300BC 06F35BAC
	v_max_f32_e32 v188, v174, v188                             // 000000004FC4: 177979AE
	s_waitcnt lgkmcnt(3)                                       // 000000004FC8: BF8CC37F
	v_max3_f32 v189, v175, v176, v189                          // 000000004FCC: D1D300BD 06F761AF
	v_max_f32_e32 v189, v177, v189                             // 000000004FD4: 177B7BB1
	s_waitcnt lgkmcnt(0)                                       // 000000004FD8: BF8CC07F
	v_max3_f32 v190, v178, v179, v190                          // 000000004FDC: D1D300BE 06FB67B2
	v_max_f32_e32 v190, v180, v190                             // 000000004FE4: 177D7DB4
	ds_write_b128 v252, v[188:191]                             // 000000004FE8: D9BE0000 0000BCFC
	s_waitcnt lgkmcnt(0)                                       // 000000004FF0: BF8CC07F
	s_barrier                                                  // 000000004FF4: BF8A0000
	ds_read_b128 v[172:175], v253                              // 000000004FF8: D9FE0000 AC0000FD
	ds_read_b128 v[176:179], v253 offset:256                   // 000000005000: D9FE0100 B00000FD
	ds_read_b128 v[180:183], v253 offset:512                   // 000000005008: D9FE0200 B40000FD
	ds_read_b128 v[184:187], v253 offset:768                   // 000000005010: D9FE0300 B80000FD
	v_pk_mul_f32 v[100:101], v[158:159], v[100:101]            // 000000005018: D3B14064 1802C99E
	v_pk_mul_f32 v[102:103], v[158:159], v[102:103]            // 000000005020: D3B14066 1802CD9E
	v_pk_mul_f32 v[104:105], v[158:159], v[104:105]            // 000000005028: D3B14068 1802D19E
	v_pk_mul_f32 v[106:107], v[158:159], v[106:107]            // 000000005030: D3B1406A 1802D59E
	v_pk_mul_f32 v[108:109], v[160:161], v[108:109]            // 000000005038: D3B1406C 1802D9A0
	v_pk_mul_f32 v[110:111], v[160:161], v[110:111]            // 000000005040: D3B1406E 1802DDA0
	v_pk_mul_f32 v[112:113], v[160:161], v[112:113]            // 000000005048: D3B14070 1802E1A0
	v_pk_mul_f32 v[114:115], v[160:161], v[114:115]            // 000000005050: D3B14072 1802E5A0
	v_pk_mul_f32 v[116:117], v[162:163], v[116:117]            // 000000005058: D3B14074 1802E9A2
	v_pk_mul_f32 v[118:119], v[162:163], v[118:119]            // 000000005060: D3B14076 1802EDA2
	v_pk_mul_f32 v[120:121], v[162:163], v[120:121]            // 000000005068: D3B14078 1802F1A2
	v_pk_mul_f32 v[122:123], v[162:163], v[122:123]            // 000000005070: D3B1407A 1802F5A2
	s_waitcnt lgkmcnt(0)                                       // 000000005078: BF8CC07F
	v_max3_f32 v188, v172, v176, v188                          // 00000000507C: D1D300BC 06F361AC
	v_max3_f32 v189, v173, v177, v189                          // 000000005084: D1D300BD 06F763AD
	v_max3_f32 v190, v174, v178, v190                          // 00000000508C: D1D300BE 06FB65AE
	v_max3_f32 v188, v180, v184, v188                          // 000000005094: D1D300BC 06F371B4
	v_max3_f32 v189, v181, v185, v189                          // 00000000509C: D1D300BD 06F773B5
	v_max3_f32 v190, v182, v186, v190                          // 0000000050A4: D1D300BE 06FB75B6
	v_max_f32_e32 v197, v188, v194                             // 0000000050AC: 178B85BC
	v_mul_f32_e64 v168, -s46, v197                             // 0000000050B0: D10500A8 20038A2E
	v_mov_b32_e32 v169, v168                                   // 0000000050B8: 7F5203A8
	v_pk_fma_f32 v[4:5], v[4:5], s[46:47], v[168:169]          // 0000000050BC: D3B04004 1EA05D04
	v_pk_fma_f32 v[6:7], v[6:7], s[46:47], v[168:169]          // 0000000050C4: D3B04006 1EA05D06
	v_exp_f32_e32 v4, v4                                       // 0000000050CC: 7E084104
	v_exp_f32_e32 v5, v5                                       // 0000000050D0: 7E0A4105
	v_exp_f32_e32 v6, v6                                       // 0000000050D4: 7E0C4106
	v_exp_f32_e32 v7, v7                                       // 0000000050D8: 7E0E4107
	v_pk_fma_f32 v[8:9], v[8:9], s[46:47], v[168:169]          // 0000000050DC: D3B04008 1EA05D08
	v_pk_fma_f32 v[10:11], v[10:11], s[46:47], v[168:169]      // 0000000050E4: D3B0400A 1EA05D0A
	v_exp_f32_e32 v8, v8                                       // 0000000050EC: 7E104108
	v_exp_f32_e32 v9, v9                                       // 0000000050F0: 7E124109
	v_exp_f32_e32 v10, v10                                     // 0000000050F4: 7E14410A
	v_exp_f32_e32 v11, v11                                     // 0000000050F8: 7E16410B
	v_pk_fma_f32 v[12:13], v[12:13], s[46:47], v[168:169]      // 0000000050FC: D3B0400C 1EA05D0C
	v_pk_fma_f32 v[14:15], v[14:15], s[46:47], v[168:169]      // 000000005104: D3B0400E 1EA05D0E
	v_exp_f32_e32 v12, v12                                     // 00000000510C: 7E18410C
	v_exp_f32_e32 v13, v13                                     // 000000005110: 7E1A410D
	v_exp_f32_e32 v14, v14                                     // 000000005114: 7E1C410E
	v_exp_f32_e32 v15, v15                                     // 000000005118: 7E1E410F
	v_pk_fma_f32 v[16:17], v[16:17], s[46:47], v[168:169]      // 00000000511C: D3B04010 1EA05D10
	v_pk_fma_f32 v[18:19], v[18:19], s[46:47], v[168:169]      // 000000005124: D3B04012 1EA05D12
	v_exp_f32_e32 v16, v16                                     // 00000000512C: 7E204110
	v_exp_f32_e32 v17, v17                                     // 000000005130: 7E224111
	v_exp_f32_e32 v18, v18                                     // 000000005134: 7E244112
	v_exp_f32_e32 v19, v19                                     // 000000005138: 7E264113
	v_max_f32_e32 v198, v189, v195                             // 00000000513C: 178D87BD
	v_mul_f32_e64 v168, -s46, v198                             // 000000005140: D10500A8 20038C2E
	v_mov_b32_e32 v169, v168                                   // 000000005148: 7F5203A8
	v_pk_fma_f32 v[20:21], v[20:21], s[46:47], v[168:169]      // 00000000514C: D3B04014 1EA05D14
	v_pk_fma_f32 v[22:23], v[22:23], s[46:47], v[168:169]      // 000000005154: D3B04016 1EA05D16
	v_exp_f32_e32 v20, v20                                     // 00000000515C: 7E284114
	v_exp_f32_e32 v21, v21                                     // 000000005160: 7E2A4115
	v_exp_f32_e32 v22, v22                                     // 000000005164: 7E2C4116
	v_exp_f32_e32 v23, v23                                     // 000000005168: 7E2E4117
	v_pk_fma_f32 v[24:25], v[24:25], s[46:47], v[168:169]      // 00000000516C: D3B04018 1EA05D18
	v_pk_fma_f32 v[26:27], v[26:27], s[46:47], v[168:169]      // 000000005174: D3B0401A 1EA05D1A
	v_exp_f32_e32 v24, v24                                     // 00000000517C: 7E304118
	v_exp_f32_e32 v25, v25                                     // 000000005180: 7E324119
	v_exp_f32_e32 v26, v26                                     // 000000005184: 7E34411A
	v_exp_f32_e32 v27, v27                                     // 000000005188: 7E36411B
	v_pk_fma_f32 v[28:29], v[28:29], s[46:47], v[168:169]      // 00000000518C: D3B0401C 1EA05D1C
	v_pk_fma_f32 v[30:31], v[30:31], s[46:47], v[168:169]      // 000000005194: D3B0401E 1EA05D1E
	v_exp_f32_e32 v28, v28                                     // 00000000519C: 7E38411C
	v_exp_f32_e32 v29, v29                                     // 0000000051A0: 7E3A411D
	v_exp_f32_e32 v30, v30                                     // 0000000051A4: 7E3C411E
	v_exp_f32_e32 v31, v31                                     // 0000000051A8: 7E3E411F
	v_pk_fma_f32 v[32:33], v[32:33], s[46:47], v[168:169]      // 0000000051AC: D3B04020 1EA05D20
	v_pk_fma_f32 v[34:35], v[34:35], s[46:47], v[168:169]      // 0000000051B4: D3B04022 1EA05D22
	v_exp_f32_e32 v32, v32                                     // 0000000051BC: 7E404120
	v_exp_f32_e32 v33, v33                                     // 0000000051C0: 7E424121
	v_exp_f32_e32 v34, v34                                     // 0000000051C4: 7E444122
	v_exp_f32_e32 v35, v35                                     // 0000000051C8: 7E464123
	v_max_f32_e32 v199, v190, v196                             // 0000000051CC: 178F89BE
	v_mul_f32_e64 v168, -s46, v199                             // 0000000051D0: D10500A8 20038E2E
	v_mov_b32_e32 v169, v168                                   // 0000000051D8: 7F5203A8
	v_pk_fma_f32 v[36:37], v[36:37], s[46:47], v[168:169]      // 0000000051DC: D3B04024 1EA05D24
	v_pk_fma_f32 v[38:39], v[38:39], s[46:47], v[168:169]      // 0000000051E4: D3B04026 1EA05D26
	v_exp_f32_e32 v36, v36                                     // 0000000051EC: 7E484124
	v_exp_f32_e32 v37, v37                                     // 0000000051F0: 7E4A4125
	v_exp_f32_e32 v38, v38                                     // 0000000051F4: 7E4C4126
	v_exp_f32_e32 v39, v39                                     // 0000000051F8: 7E4E4127
	v_pk_fma_f32 v[40:41], v[40:41], s[46:47], v[168:169]      // 0000000051FC: D3B04028 1EA05D28
	v_pk_fma_f32 v[42:43], v[42:43], s[46:47], v[168:169]      // 000000005204: D3B0402A 1EA05D2A
	v_exp_f32_e32 v40, v40                                     // 00000000520C: 7E504128
	v_exp_f32_e32 v41, v41                                     // 000000005210: 7E524129
	v_exp_f32_e32 v42, v42                                     // 000000005214: 7E54412A
	v_exp_f32_e32 v43, v43                                     // 000000005218: 7E56412B
	v_mul_f32_dpp v52, v157, v4 row_newbcast:0 row_mask:0xf bank_mask:0xf// 00000000521C: 0A6808FA FF01509D
	v_mul_f32_dpp v53, v157, v5 row_newbcast:1 row_mask:0xf bank_mask:0xf// 000000005224: 0A6A0AFA FF01519D
	v_mul_f32_dpp v54, v157, v6 row_newbcast:2 row_mask:0xf bank_mask:0xf// 00000000522C: 0A6C0CFA FF01529D
	v_mul_f32_dpp v55, v157, v7 row_newbcast:3 row_mask:0xf bank_mask:0xf// 000000005234: 0A6E0EFA FF01539D
	v_mul_f32_dpp v56, v157, v8 row_newbcast:4 row_mask:0xf bank_mask:0xf// 00000000523C: 0A7010FA FF01549D
	v_mul_f32_dpp v57, v157, v9 row_newbcast:5 row_mask:0xf bank_mask:0xf// 000000005244: 0A7212FA FF01559D
	v_mul_f32_dpp v58, v157, v10 row_newbcast:6 row_mask:0xf bank_mask:0xf// 00000000524C: 0A7414FA FF01569D
	v_mul_f32_dpp v59, v157, v11 row_newbcast:7 row_mask:0xf bank_mask:0xf// 000000005254: 0A7616FA FF01579D
	v_mul_f32_dpp v60, v157, v12 row_newbcast:8 row_mask:0xf bank_mask:0xf// 00000000525C: 0A7818FA FF01589D
	v_mul_f32_dpp v61, v157, v13 row_newbcast:9 row_mask:0xf bank_mask:0xf// 000000005264: 0A7A1AFA FF01599D
	v_mul_f32_dpp v62, v157, v14 row_newbcast:10 row_mask:0xf bank_mask:0xf// 00000000526C: 0A7C1CFA FF015A9D
	v_mul_f32_dpp v63, v157, v15 row_newbcast:11 row_mask:0xf bank_mask:0xf// 000000005274: 0A7E1EFA FF015B9D
	v_mul_f32_dpp v64, v157, v16 row_newbcast:12 row_mask:0xf bank_mask:0xf// 00000000527C: 0A8020FA FF015C9D
	v_mul_f32_dpp v65, v157, v17 row_newbcast:13 row_mask:0xf bank_mask:0xf// 000000005284: 0A8222FA FF015D9D
	v_mul_f32_dpp v66, v157, v18 row_newbcast:14 row_mask:0xf bank_mask:0xf// 00000000528C: 0A8424FA FF015E9D
	v_mul_f32_dpp v67, v157, v19 row_newbcast:15 row_mask:0xf bank_mask:0xf// 000000005294: 0A8626FA FF015F9D
	v_mul_f32_dpp v68, v157, v20 row_newbcast:0 row_mask:0xf bank_mask:0xf// 00000000529C: 0A8828FA FF01509D
	v_mul_f32_dpp v69, v157, v21 row_newbcast:1 row_mask:0xf bank_mask:0xf// 0000000052A4: 0A8A2AFA FF01519D
	v_mul_f32_dpp v70, v157, v22 row_newbcast:2 row_mask:0xf bank_mask:0xf// 0000000052AC: 0A8C2CFA FF01529D
	v_mul_f32_dpp v71, v157, v23 row_newbcast:3 row_mask:0xf bank_mask:0xf// 0000000052B4: 0A8E2EFA FF01539D
	v_mul_f32_dpp v72, v157, v24 row_newbcast:4 row_mask:0xf bank_mask:0xf// 0000000052BC: 0A9030FA FF01549D
	v_mul_f32_dpp v73, v157, v25 row_newbcast:5 row_mask:0xf bank_mask:0xf// 0000000052C4: 0A9232FA FF01559D
	v_mul_f32_dpp v74, v157, v26 row_newbcast:6 row_mask:0xf bank_mask:0xf// 0000000052CC: 0A9434FA FF01569D
	v_mul_f32_dpp v75, v157, v27 row_newbcast:7 row_mask:0xf bank_mask:0xf// 0000000052D4: 0A9636FA FF01579D
	v_mul_f32_dpp v76, v157, v28 row_newbcast:8 row_mask:0xf bank_mask:0xf// 0000000052DC: 0A9838FA FF01589D
	v_mul_f32_dpp v77, v157, v29 row_newbcast:9 row_mask:0xf bank_mask:0xf// 0000000052E4: 0A9A3AFA FF01599D
	v_mul_f32_dpp v78, v157, v30 row_newbcast:10 row_mask:0xf bank_mask:0xf// 0000000052EC: 0A9C3CFA FF015A9D
	v_mul_f32_dpp v79, v157, v31 row_newbcast:11 row_mask:0xf bank_mask:0xf// 0000000052F4: 0A9E3EFA FF015B9D
	v_mul_f32_dpp v80, v157, v32 row_newbcast:12 row_mask:0xf bank_mask:0xf// 0000000052FC: 0AA040FA FF015C9D
	v_mul_f32_dpp v81, v157, v33 row_newbcast:13 row_mask:0xf bank_mask:0xf// 000000005304: 0AA242FA FF015D9D
	v_mul_f32_dpp v82, v157, v34 row_newbcast:14 row_mask:0xf bank_mask:0xf// 00000000530C: 0AA444FA FF015E9D
	v_mul_f32_dpp v83, v157, v35 row_newbcast:15 row_mask:0xf bank_mask:0xf// 000000005314: 0AA646FA FF015F9D
	v_mul_f32_dpp v84, v166, v36 quad_perm:[0,0,0,0] row_mask:0xf bank_mask:0xf// 00000000531C: 0AA848FA FF0000A6
	v_mul_f32_dpp v85, v166, v37 quad_perm:[1,1,1,1] row_mask:0xf bank_mask:0xf// 000000005324: 0AAA4AFA FF0055A6
	v_mul_f32_dpp v86, v166, v38 quad_perm:[2,2,2,2] row_mask:0xf bank_mask:0xf// 00000000532C: 0AAC4CFA FF00AAA6
	v_mul_f32_dpp v87, v166, v39 quad_perm:[3,3,3,3] row_mask:0xf bank_mask:0xf// 000000005334: 0AAE4EFA FF00FFA6
	v_mul_f32_dpp v88, v167, v40 quad_perm:[0,0,0,0] row_mask:0xf bank_mask:0xf// 00000000533C: 0AB050FA FF0000A7
	v_mul_f32_dpp v89, v167, v41 quad_perm:[1,1,1,1] row_mask:0xf bank_mask:0xf// 000000005344: 0AB252FA FF0055A7
	v_mul_f32_dpp v90, v167, v42 quad_perm:[2,2,2,2] row_mask:0xf bank_mask:0xf// 00000000534C: 0AB454FA FF00AAA7
	v_mul_f32_dpp v91, v167, v43 quad_perm:[3,3,3,3] row_mask:0xf bank_mask:0xf// 000000005354: 0AB656FA FF00FFA7
	v_mov_b32_e32 v190, 0x358637bd                             // 00000000535C: 7F7C02FF 358637BD
	v_max3_f32 v190, |v84|, |v85|, v190                        // 000000005364: D1D303BE 06FAAB54
	v_max3_f32 v190, |v86|, |v87|, v190                        // 00000000536C: D1D303BE 06FAAF56
	v_max3_f32 v190, |v88|, |v89|, v190                        // 000000005374: D1D303BE 06FAB358
	v_max3_f32 v190, |v90|, |v91|, v190                        // 00000000537C: D1D303BE 06FAB75A
	v_mov_b32_e32 v189, 0x358637bd                             // 000000005384: 7F7A02FF 358637BD
	v_max3_f32 v189, |v68|, |v69|, v189                        // 00000000538C: D1D303BD 06F68B44
	v_max3_f32 v189, |v70|, |v71|, v189                        // 000000005394: D1D303BD 06F68F46
	v_max3_f32 v189, |v72|, |v73|, v189                        // 00000000539C: D1D303BD 06F69348
	v_max3_f32 v189, |v74|, |v75|, v189                        // 0000000053A4: D1D303BD 06F6974A
	v_max3_f32 v189, |v76|, |v77|, v189                        // 0000000053AC: D1D303BD 06F69B4C
	v_max3_f32 v189, |v78|, |v79|, v189                        // 0000000053B4: D1D303BD 06F69F4E
	v_max3_f32 v189, |v80|, |v81|, v189                        // 0000000053BC: D1D303BD 06F6A350
	v_max3_f32 v189, |v82|, |v83|, v189                        // 0000000053C4: D1D303BD 06F6A752
	v_mov_b32_e32 v188, 0x358637bd                             // 0000000053CC: 7F7802FF 358637BD
	v_max3_f32 v188, |v52|, |v53|, v188                        // 0000000053D4: D1D303BC 06F26B34
	v_max3_f32 v188, |v54|, |v55|, v188                        // 0000000053DC: D1D303BC 06F26F36
	v_max3_f32 v188, |v56|, |v57|, v188                        // 0000000053E4: D1D303BC 06F27338
	v_max3_f32 v188, |v58|, |v59|, v188                        // 0000000053EC: D1D303BC 06F2773A
	v_max3_f32 v188, |v60|, |v61|, v188                        // 0000000053F4: D1D303BC 06F27B3C
	v_max3_f32 v188, |v62|, |v63|, v188                        // 0000000053FC: D1D303BC 06F27F3E
	v_max3_f32 v188, |v64|, |v65|, v188                        // 000000005404: D1D303BC 06F28340
	v_max3_f32 v188, |v66|, |v67|, v188                        // 00000000540C: D1D303BC 06F28742
	v_max_f32_dpp v190, v190, v190 row_ror:8 row_mask:0xf bank_mask:0xf// 000000005414: 177D7CFA FF0128BE
	ds_bpermute_b32 v172, v212, v188                           // 00000000541C: D87E0000 AC00BCD4
	ds_bpermute_b32 v173, v213, v188                           // 000000005424: D87E0000 AD00BCD5
	ds_bpermute_b32 v174, v214, v188                           // 00000000542C: D87E0000 AE00BCD6
	ds_bpermute_b32 v175, v212, v189                           // 000000005434: D87E0000 AF00BDD4
	ds_bpermute_b32 v176, v213, v189                           // 00000000543C: D87E0000 B000BDD5
	ds_bpermute_b32 v177, v214, v189                           // 000000005444: D87E0000 B100BDD6
	ds_bpermute_b32 v178, v212, v190                           // 00000000544C: D87E0000 B200BED4
	ds_bpermute_b32 v179, v213, v190                           // 000000005454: D87E0000 B300BED5
	ds_bpermute_b32 v180, v214, v190                           // 00000000545C: D87E0000 B400BED6
	s_waitcnt lgkmcnt(6)                                       // 000000005464: BF8CC67F
	v_max3_f32 v188, v172, v173, v188                          // 000000005468: D1D300BC 06F35BAC
	v_max_f32_e32 v188, v174, v188                             // 000000005470: 177979AE
	s_waitcnt lgkmcnt(3)                                       // 000000005474: BF8CC37F
	v_max3_f32 v189, v175, v176, v189                          // 000000005478: D1D300BD 06F761AF
	v_max_f32_e32 v189, v177, v189                             // 000000005480: 177B7BB1
	s_waitcnt lgkmcnt(0)                                       // 000000005484: BF8CC07F
	v_max3_f32 v190, v178, v179, v190                          // 000000005488: D1D300BE 06FB67B2
	v_max_f32_e32 v190, v180, v190                             // 000000005490: 177D7DB4
	ds_write_b128 v252, v[188:191] offset:4096                 // 000000005494: D9BE1000 0000BCFC
	buffer_load_dword v154, v238, s[20:23], 0 offen            // 00000000549C: E0501000 80059AEE
	v_sub_f32_e32 v200, v194, v197                             // 0000000054A4: 05918BC2
	v_cmp_eq_u32_e64 s[98:99], v225, v194                      // 0000000054A8: D0CA0062 000385E1
	v_cndmask_b32_e64 v200, v200, 0, s[98:99]                  // 0000000054B0: D10000C8 018901C8
	v_mov_b32_e32 v194, v197                                   // 0000000054B8: 7F8403C5
	v_mul_f32_e32 v200, s46, v200                              // 0000000054BC: 0B91902E
	v_exp_f32_e32 v200, v200                                   // 0000000054C0: 7F9041C8
	v_sub_f32_e32 v202, v195, v198                             // 0000000054C4: 05958DC3
	v_cmp_eq_u32_e64 s[98:99], v225, v195                      // 0000000054C8: D0CA0062 000387E1
	v_cndmask_b32_e64 v202, v202, 0, s[98:99]                  // 0000000054D0: D10000CA 018901CA
	v_mov_b32_e32 v195, v198                                   // 0000000054D8: 7F8603C6
	v_mul_f32_e32 v202, s46, v202                              // 0000000054DC: 0B95942E
	v_exp_f32_e32 v202, v202                                   // 0000000054E0: 7F9441CA
	v_sub_f32_e32 v204, v196, v199                             // 0000000054E4: 05998FC4
	v_cmp_eq_u32_e64 s[98:99], v225, v196                      // 0000000054E8: D0CA0062 000389E1
	v_cndmask_b32_e64 v204, v204, 0, s[98:99]                  // 0000000054F0: D10000CC 018901CC
	v_mov_b32_e32 v196, v199                                   // 0000000054F8: 7F8803C7
	v_mul_f32_e32 v204, s46, v204                              // 0000000054FC: 0B99982E
	v_exp_f32_e32 v204, v204                                   // 000000005500: 7F9841CC
	v_mov_b32_e32 v201, v200                                   // 000000005504: 7F9203C8
	v_mov_b32_e32 v203, v202                                   // 000000005508: 7F9603CA
	v_mov_b32_e32 v205, v204                                   // 00000000550C: 7F9A03CC
	s_waitcnt lgkmcnt(0)                                       // 000000005510: BF8CC07F
	s_barrier                                                  // 000000005514: BF8A0000
	ds_read_b128 v[172:175], v253 offset:4096                  // 000000005518: D9FE1000 AC0000FD
	ds_read_b128 v[176:179], v253 offset:4352                  // 000000005520: D9FE1100 B00000FD
	ds_read_b128 v[180:183], v253 offset:4608                  // 000000005528: D9FE1200 B40000FD
	ds_read_b128 v[184:187], v253 offset:4864                  // 000000005530: D9FE1300 B80000FD
	buffer_load_dword v156, v239, s[24:27], 0 offen            // 000000005538: E0501000 80069CEF
	v_mul_f32_e32 v206, v200, v206                             // 000000005540: 0B9D9DC8
	v_mov_b32_e32 v207, 0                                      // 000000005544: 7F9E0280
	v_pk_add_f32 v[206:207], v[4:5], v[206:207]                // 000000005548: D3B240CE 18039D04
	v_pk_add_f32 v[206:207], v[6:7], v[206:207]                // 000000005550: D3B240CE 18039D06
	v_pk_add_f32 v[206:207], v[8:9], v[206:207]                // 000000005558: D3B240CE 18039D08
	v_pk_add_f32 v[206:207], v[10:11], v[206:207]              // 000000005560: D3B240CE 18039D0A
	v_pk_add_f32 v[206:207], v[12:13], v[206:207]              // 000000005568: D3B240CE 18039D0C
	v_pk_add_f32 v[206:207], v[14:15], v[206:207]              // 000000005570: D3B240CE 18039D0E
	v_pk_add_f32 v[206:207], v[16:17], v[206:207]              // 000000005578: D3B240CE 18039D10
	v_pk_add_f32 v[206:207], v[18:19], v[206:207]              // 000000005580: D3B240CE 18039D12
	v_add_f32_e32 v206, v207, v206                             // 000000005588: 039D9DCF
	v_mul_f32_e32 v208, v202, v208                             // 00000000558C: 0BA1A1CA
	v_mov_b32_e32 v209, 0                                      // 000000005590: 7FA20280
	v_pk_add_f32 v[208:209], v[20:21], v[208:209]              // 000000005594: D3B240D0 1803A114
	v_pk_add_f32 v[208:209], v[22:23], v[208:209]              // 00000000559C: D3B240D0 1803A116
	v_pk_add_f32 v[208:209], v[24:25], v[208:209]              // 0000000055A4: D3B240D0 1803A118
	v_pk_add_f32 v[208:209], v[26:27], v[208:209]              // 0000000055AC: D3B240D0 1803A11A
	v_pk_add_f32 v[208:209], v[28:29], v[208:209]              // 0000000055B4: D3B240D0 1803A11C
	v_pk_add_f32 v[208:209], v[30:31], v[208:209]              // 0000000055BC: D3B240D0 1803A11E
	v_pk_add_f32 v[208:209], v[32:33], v[208:209]              // 0000000055C4: D3B240D0 1803A120
	v_pk_add_f32 v[208:209], v[34:35], v[208:209]              // 0000000055CC: D3B240D0 1803A122
	v_add_f32_e32 v208, v209, v208                             // 0000000055D4: 03A1A1D1
	v_mul_f32_e32 v210, v204, v210                             // 0000000055D8: 0BA5A5CC
	v_mov_b32_e32 v211, 0                                      // 0000000055DC: 7FA60280
	v_pk_add_f32 v[210:211], v[36:37], v[210:211]              // 0000000055E0: D3B240D2 1803A524
	v_pk_add_f32 v[210:211], v[38:39], v[210:211]              // 0000000055E8: D3B240D2 1803A526
	v_pk_add_f32 v[210:211], v[40:41], v[210:211]              // 0000000055F0: D3B240D2 1803A528
	v_pk_add_f32 v[210:211], v[42:43], v[210:211]              // 0000000055F8: D3B240D2 1803A52A
	v_add_f32_e32 v210, v211, v210                             // 000000005600: 03A5A5D3
	s_waitcnt lgkmcnt(0)                                       // 000000005604: BF8CC07F
	v_max3_f32 v188, v172, v176, v188                          // 000000005608: D1D300BC 06F361AC
	v_max3_f32 v189, v173, v177, v189                          // 000000005610: D1D300BD 06F763AD
	v_max3_f32 v190, v174, v178, v190                          // 000000005618: D1D300BE 06FB65AE
	v_max3_f32 v188, v180, v184, v188                          // 000000005620: D1D300BC 06F371B4
	v_max3_f32 v189, v181, v185, v189                          // 000000005628: D1D300BD 06F773B5
	v_max3_f32 v190, v182, v186, v190                          // 000000005630: D1D300BE 06FB75B6
	v_rcp_f32_e32 v188, v188                                   // 000000005638: 7F7845BC
	v_rcp_f32_e32 v189, v189                                   // 00000000563C: 7F7A45BD
	v_rcp_f32_e32 v190, v190                                   // 000000005640: 7F7C45BE
	v_mul_f32_e32 v188, 0x43700000, v188                       // 000000005644: 0B7978FF 43700000
	v_mul_f32_e32 v189, 0x43700000, v189                       // 00000000564C: 0B7B7AFF 43700000
	v_mul_f32_e32 v190, 0x43700000, v190                       // 000000005654: 0B7D7CFF 43700000
	v_mov_b32_e32 v192, v190                                   // 00000000565C: 7F8003BE
	v_mov_b32_e32 v193, v190                                   // 000000005660: 7F8203BE
	v_mov_b32_e32 v190, v189                                   // 000000005664: 7F7C03BD
	v_mov_b32_e32 v191, v189                                   // 000000005668: 7F7E03BD
	v_mov_b32_e32 v189, v188                                   // 00000000566C: 7F7A03BC
	v_pk_mul_f32 v[4:5], v[188:189], v[52:53]                  // 000000005670: D3B14004 180269BC
	v_pk_mul_f32 v[6:7], v[188:189], v[54:55]                  // 000000005678: D3B14006 18026DBC
	v_pk_mul_f32 v[8:9], v[188:189], v[56:57]                  // 000000005680: D3B14008 180271BC
	v_pk_mul_f32 v[10:11], v[188:189], v[58:59]                // 000000005688: D3B1400A 180275BC
	v_pk_mul_f32 v[12:13], v[188:189], v[60:61]                // 000000005690: D3B1400C 180279BC
	v_pk_mul_f32 v[14:15], v[188:189], v[62:63]                // 000000005698: D3B1400E 18027DBC
	v_pk_mul_f32 v[16:17], v[188:189], v[64:65]                // 0000000056A0: D3B14010 180281BC
	v_pk_mul_f32 v[18:19], v[188:189], v[66:67]                // 0000000056A8: D3B14012 180285BC
	v_pk_mul_f32 v[20:21], v[190:191], v[68:69]                // 0000000056B0: D3B14014 180289BE
	v_pk_mul_f32 v[22:23], v[190:191], v[70:71]                // 0000000056B8: D3B14016 18028DBE
	v_pk_mul_f32 v[24:25], v[190:191], v[72:73]                // 0000000056C0: D3B14018 180291BE
	v_pk_mul_f32 v[26:27], v[190:191], v[74:75]                // 0000000056C8: D3B1401A 180295BE
	v_pk_mul_f32 v[28:29], v[190:191], v[76:77]                // 0000000056D0: D3B1401C 180299BE
	v_pk_mul_f32 v[30:31], v[190:191], v[78:79]                // 0000000056D8: D3B1401E 18029DBE
	v_pk_mul_f32 v[32:33], v[190:191], v[80:81]                // 0000000056E0: D3B14020 1802A1BE
	v_pk_mul_f32 v[34:35], v[190:191], v[82:83]                // 0000000056E8: D3B14022 1802A5BE
	v_pk_mul_f32 v[36:37], v[192:193], v[84:85]                // 0000000056F0: D3B14024 1802A9C0
	v_pk_mul_f32 v[38:39], v[192:193], v[86:87]                // 0000000056F8: D3B14026 1802ADC0
	v_pk_mul_f32 v[40:41], v[192:193], v[88:89]                // 000000005700: D3B14028 1802B1C0
	v_pk_mul_f32 v[42:43], v[192:193], v[90:91]                // 000000005708: D3B1402A 1802B5C0
	v_cvt_pk_fp8_f32 v4, v4, v5                                // 000000005710: D2A20004 00020B04
	v_cvt_pk_fp8_f32 v4, v6, v7 op_sel:[0,0,1]                 // 000000005718: D2A24004 00020F06
	v_cvt_pk_fp8_f32 v5, v8, v9                                // 000000005720: D2A20005 00021308
	v_cvt_pk_fp8_f32 v5, v10, v11 op_sel:[0,0,1]               // 000000005728: D2A24005 0002170A
	v_cvt_pk_fp8_f32 v6, v12, v13                              // 000000005730: D2A20006 00021B0C
	v_cvt_pk_fp8_f32 v6, v14, v15 op_sel:[0,0,1]               // 000000005738: D2A24006 00021F0E
	v_cvt_pk_fp8_f32 v7, v16, v17                              // 000000005740: D2A20007 00022310
	v_cvt_pk_fp8_f32 v7, v18, v19 op_sel:[0,0,1]               // 000000005748: D2A24007 00022712
	v_cvt_pk_fp8_f32 v8, v20, v21                              // 000000005750: D2A20008 00022B14
	v_cvt_pk_fp8_f32 v8, v22, v23 op_sel:[0,0,1]               // 000000005758: D2A24008 00022F16
	v_cvt_pk_fp8_f32 v9, v24, v25                              // 000000005760: D2A20009 00023318
	v_cvt_pk_fp8_f32 v9, v26, v27 op_sel:[0,0,1]               // 000000005768: D2A24009 0002371A
	v_cvt_pk_fp8_f32 v10, v28, v29                             // 000000005770: D2A2000A 00023B1C
	v_cvt_pk_fp8_f32 v10, v30, v31 op_sel:[0,0,1]              // 000000005778: D2A2400A 00023F1E
	v_cvt_pk_fp8_f32 v11, v32, v33                             // 000000005780: D2A2000B 00024320
	v_cvt_pk_fp8_f32 v11, v34, v35 op_sel:[0,0,1]              // 000000005788: D2A2400B 00024722
	v_cvt_pk_fp8_f32 v12, v36, v37                             // 000000005790: D2A2000C 00024B24
	v_cvt_pk_fp8_f32 v12, v38, v39 op_sel:[0,0,1]              // 000000005798: D2A2400C 00024F26
	v_cvt_pk_fp8_f32 v13, v40, v41                             // 0000000057A0: D2A2000D 00025328
	v_cvt_pk_fp8_f32 v13, v42, v43 op_sel:[0,0,1]              // 0000000057A8: D2A2400D 0002572A
	v_mov_b32_dpp v14, v12 row_shl:8 row_mask:0xf bank_mask:0xf bound_ctrl:1// 0000000057B0: 7E1C02FA FF09080C
	v_and_b32_e32 v12, v12, v224                               // 0000000057B8: 2619C10C
	v_mov_b32_dpp v15, v13 row_shl:8 row_mask:0xf bank_mask:0xf bound_ctrl:1// 0000000057BC: 7E1E02FA FF09080D
	v_and_b32_e32 v13, v13, v224                               // 0000000057C4: 261BC10D
	ds_write_b32 v254, v4 offset:8192                          // 0000000057C8: D81A2000 000004FE
	ds_write_b32 v254, v5 offset:9216                          // 0000000057D0: D81A2400 000005FE
	ds_write_b32 v254, v6 offset:10240                         // 0000000057D8: D81A2800 000006FE
	ds_write_b32 v254, v7 offset:11264                         // 0000000057E0: D81A2C00 000007FE
	ds_write_b32 v254, v8 offset:12288                         // 0000000057E8: D81A3000 000008FE
	ds_write_b32 v254, v9 offset:13312                         // 0000000057F0: D81A3400 000009FE
	ds_write_b32 v254, v10 offset:14336                        // 0000000057F8: D81A3800 00000AFE
	ds_write_b32 v254, v11 offset:15360                        // 000000005800: D81A3C00 00000BFE
	ds_write_b32 v254, v12 offset:16384                        // 000000005808: D81A4000 00000CFE
	ds_write_b32 v254, v13 offset:17408                        // 000000005810: D81A4400 00000DFE
	ds_write_b32 v254, v14 offset:18432                        // 000000005818: D81A4800 00000EFE
	ds_write_b32 v254, v15 offset:19456                        // 000000005820: D81A4C00 00000FFE
	v_rcp_f32_e32 v158, v188                                   // 000000005828: 7F3C45BC
	v_rcp_f32_e32 v160, v190                                   // 00000000582C: 7F4045BE
	v_rcp_f32_e32 v162, v192                                   // 000000005830: 7F4445C0
	v_mov_b32_e32 v159, v158                                   // 000000005834: 7F3E039E
	v_mov_b32_e32 v161, v160                                   // 000000005838: 7F4203A0
	v_mov_b32_e32 v163, v162                                   // 00000000583C: 7F4603A2
	v_pk_add_f32 v[124:125], v[124:125], v[100:101]            // 000000005840: D3B2407C 1802C97C
	v_pk_add_f32 v[126:127], v[126:127], v[102:103]            // 000000005848: D3B2407E 1802CD7E
	v_pk_add_f32 v[128:129], v[128:129], v[104:105]            // 000000005850: D3B24080 1802D180
	v_pk_add_f32 v[130:131], v[130:131], v[106:107]            // 000000005858: D3B24082 1802D582
	v_pk_add_f32 v[132:133], v[132:133], v[108:109]            // 000000005860: D3B24084 1802D984
	v_pk_add_f32 v[134:135], v[134:135], v[110:111]            // 000000005868: D3B24086 1802DD86
	v_pk_add_f32 v[136:137], v[136:137], v[112:113]            // 000000005870: D3B24088 1802E188
	v_pk_add_f32 v[138:139], v[138:139], v[114:115]            // 000000005878: D3B2408A 1802E58A
	v_pk_add_f32 v[140:141], v[140:141], v[116:117]            // 000000005880: D3B2408C 1802E98C
	v_pk_add_f32 v[142:143], v[142:143], v[118:119]            // 000000005888: D3B2408E 1802ED8E
	v_pk_add_f32 v[144:145], v[144:145], v[120:121]            // 000000005890: D3B24090 1802F190
	v_pk_add_f32 v[146:147], v[146:147], v[122:123]            // 000000005898: D3B24092 1802F592
	s_waitcnt lgkmcnt(0)                                       // 0000000058A0: BF8CC07F
	s_barrier                                                  // 0000000058A4: BF8A0000
	ds_read_b128 v[4:7], v255 offset:8192                      // 0000000058A8: D9FE2000 040000FF
	ds_read_b128 v[8:11], v255 offset:9216                     // 0000000058B0: D9FE2400 080000FF
	ds_read_b128 v[12:15], v255 offset:10240                   // 0000000058B8: D9FE2800 0C0000FF
	ds_read_b128 v[16:19], v255 offset:11264                   // 0000000058C0: D9FE2C00 100000FF
	ds_read_b128 v[20:23], v255 offset:12288                   // 0000000058C8: D9FE3000 140000FF
	ds_read_b128 v[24:27], v255 offset:13312                   // 0000000058D0: D9FE3400 180000FF
	ds_read_b128 v[28:31], v255 offset:14336                   // 0000000058D8: D9FE3800 1C0000FF
	ds_read_b128 v[32:35], v255 offset:15360                   // 0000000058E0: D9FE3C00 200000FF
	ds_read_b128 v[36:39], v255 offset:16384                   // 0000000058E8: D9FE4000 240000FF
	ds_read_b128 v[40:43], v255 offset:17408                   // 0000000058F0: D9FE4400 280000FF
	ds_read_b128 v[44:47], v255 offset:18432                   // 0000000058F8: D9FE4800 2C0000FF
	ds_read_b128 v[48:51], v255 offset:19456                   // 000000005900: D9FE4C00 300000FF
	s_waitcnt vmcnt(10)                                        // 000000005908: BF8C0F7A
	s_waitcnt lgkmcnt(11)                                      // 00000000590C: BF8CCB7F
	v_mfma_f32_16x16x32_fp8_fp8 v[100:103], a[120:121], v[4:5], 0// 000000005910: D3F30064 0A020978
	v_mfma_f32_16x16x32_fp8_fp8 v[104:107], a[136:137], v[4:5], 0// 000000005918: D3F30068 0A020988
	v_mfma_f32_16x16x32_fp8_fp8 v[100:103], a[122:123], v[6:7], v[100:103]// 000000005920: D3F30064 0D920D7A
	buffer_load_dwordx4 a[88:91], v234, s[16:19], 0 offen      // 000000005928: E05C1000 808458EA
	v_mfma_f32_16x16x32_fp8_fp8 v[104:107], a[138:139], v[6:7], v[104:107]// 000000005930: D3F30068 0DA20D8A
	s_waitcnt lgkmcnt(10)                                      // 000000005938: BF8CCA7F
	v_mfma_f32_16x16x32_fp8_fp8 v[100:103], a[124:125], v[8:9], v[100:103]// 00000000593C: D3F30064 0D92117C
	v_mfma_f32_16x16x32_fp8_fp8 v[104:107], a[140:141], v[8:9], v[104:107]// 000000005944: D3F30068 0DA2118C
	v_mfma_f32_16x16x32_fp8_fp8 v[100:103], a[126:127], v[10:11], v[100:103]// 00000000594C: D3F30064 0D92157E
	buffer_load_dwordx4 a[92:95], v235, s[16:19], 0 offen      // 000000005954: E05C1000 80845CEB
	v_mfma_f32_16x16x32_fp8_fp8 v[104:107], a[142:143], v[10:11], v[104:107]// 00000000595C: D3F30068 0DA2158E
	s_waitcnt lgkmcnt(9)                                       // 000000005964: BF8CC97F
	v_mfma_f32_16x16x32_fp8_fp8 v[100:103], a[128:129], v[12:13], v[100:103]// 000000005968: D3F30064 0D921980
	v_mfma_f32_16x16x32_fp8_fp8 v[104:107], a[144:145], v[12:13], v[104:107]// 000000005970: D3F30068 0DA21990
	v_mfma_f32_16x16x32_fp8_fp8 v[100:103], a[130:131], v[14:15], v[100:103]// 000000005978: D3F30064 0D921D82
	buffer_load_dwordx4 a[96:99], v236, s[16:19], 0 offen      // 000000005980: E05C1000 808460EC
	v_mfma_f32_16x16x32_fp8_fp8 v[104:107], a[146:147], v[14:15], v[104:107]// 000000005988: D3F30068 0DA21D92
	s_waitcnt lgkmcnt(8)                                       // 000000005990: BF8CC87F
	v_mfma_f32_16x16x32_fp8_fp8 v[100:103], a[132:133], v[16:17], v[100:103]// 000000005994: D3F30064 0D922184
	v_mfma_f32_16x16x32_fp8_fp8 v[104:107], a[148:149], v[16:17], v[104:107]// 00000000599C: D3F30068 0DA22194
	v_mfma_f32_16x16x32_fp8_fp8 v[100:103], a[134:135], v[18:19], v[100:103]// 0000000059A4: D3F30064 0D922586
	buffer_load_dwordx4 a[100:103], v237, s[16:19], 0 offen    // 0000000059AC: E05C1000 808464ED
	v_mfma_f32_16x16x32_fp8_fp8 v[104:107], a[150:151], v[18:19], v[104:107]// 0000000059B4: D3F30068 0DA22596
	s_waitcnt lgkmcnt(7)                                       // 0000000059BC: BF8CC77F
	v_mfma_f32_16x16x32_fp8_fp8 v[108:111], a[120:121], v[20:21], 0// 0000000059C0: D3F3006C 0A022978
	v_mfma_f32_16x16x32_fp8_fp8 v[112:115], a[136:137], v[20:21], 0// 0000000059C8: D3F30070 0A022988
	v_mfma_f32_16x16x32_fp8_fp8 v[108:111], a[122:123], v[22:23], v[108:111]// 0000000059D0: D3F3006C 0DB22D7A
	buffer_load_dwordx4 a[104:107], v234, s[16:19], 0 offen offset:1024// 0000000059D8: E05C1400 808468EA
	v_mfma_f32_16x16x32_fp8_fp8 v[112:115], a[138:139], v[22:23], v[112:115]// 0000000059E0: D3F30070 0DC22D8A
	s_waitcnt lgkmcnt(6)                                       // 0000000059E8: BF8CC67F
	v_mfma_f32_16x16x32_fp8_fp8 v[108:111], a[124:125], v[24:25], v[108:111]// 0000000059EC: D3F3006C 0DB2317C
	v_mfma_f32_16x16x32_fp8_fp8 v[112:115], a[140:141], v[24:25], v[112:115]// 0000000059F4: D3F30070 0DC2318C
	v_mfma_f32_16x16x32_fp8_fp8 v[108:111], a[126:127], v[26:27], v[108:111]// 0000000059FC: D3F3006C 0DB2357E
	buffer_load_dwordx4 a[108:111], v235, s[16:19], 0 offen offset:1024// 000000005A04: E05C1400 80846CEB
	v_mfma_f32_16x16x32_fp8_fp8 v[112:115], a[142:143], v[26:27], v[112:115]// 000000005A0C: D3F30070 0DC2358E
	s_waitcnt lgkmcnt(5)                                       // 000000005A14: BF8CC57F
	v_mfma_f32_16x16x32_fp8_fp8 v[108:111], a[128:129], v[28:29], v[108:111]// 000000005A18: D3F3006C 0DB23980
	v_mfma_f32_16x16x32_fp8_fp8 v[112:115], a[144:145], v[28:29], v[112:115]// 000000005A20: D3F30070 0DC23990
	v_mfma_f32_16x16x32_fp8_fp8 v[108:111], a[130:131], v[30:31], v[108:111]// 000000005A28: D3F3006C 0DB23D82
	buffer_load_dwordx4 a[112:115], v236, s[16:19], 0 offen offset:1024// 000000005A30: E05C1400 808470EC
	v_mfma_f32_16x16x32_fp8_fp8 v[112:115], a[146:147], v[30:31], v[112:115]// 000000005A38: D3F30070 0DC23D92
	s_waitcnt lgkmcnt(4)                                       // 000000005A40: BF8CC47F
	v_mfma_f32_16x16x32_fp8_fp8 v[108:111], a[132:133], v[32:33], v[108:111]// 000000005A44: D3F3006C 0DB24184
	v_mfma_f32_16x16x32_fp8_fp8 v[112:115], a[148:149], v[32:33], v[112:115]// 000000005A4C: D3F30070 0DC24194
	v_mfma_f32_16x16x32_fp8_fp8 v[108:111], a[134:135], v[34:35], v[108:111]// 000000005A54: D3F3006C 0DB24586
	buffer_load_dwordx4 a[116:119], v237, s[16:19], 0 offen offset:1024// 000000005A5C: E05C1400 808474ED
	v_mfma_f32_16x16x32_fp8_fp8 v[112:115], a[150:151], v[34:35], v[112:115]// 000000005A64: D3F30070 0DC24596
	s_waitcnt lgkmcnt(3)                                       // 000000005A6C: BF8CC37F
	v_mfma_f32_16x16x32_fp8_fp8 v[116:119], a[120:121], v[36:37], 0// 000000005A70: D3F30074 0A024978
	v_mfma_f32_16x16x32_fp8_fp8 v[120:123], a[136:137], v[36:37], 0// 000000005A78: D3F30078 0A024988
	v_mfma_f32_16x16x32_fp8_fp8 v[116:119], a[122:123], v[38:39], v[116:119]// 000000005A80: D3F30074 0DD24D7A
	v_mfma_f32_16x16x32_fp8_fp8 v[120:123], a[138:139], v[38:39], v[120:123]// 000000005A88: D3F30078 0DE24D8A
	s_waitcnt lgkmcnt(2)                                       // 000000005A90: BF8CC27F
	v_mfma_f32_16x16x32_fp8_fp8 v[116:119], a[124:125], v[40:41], v[116:119]// 000000005A94: D3F30074 0DD2517C
	v_mfma_f32_16x16x32_fp8_fp8 v[120:123], a[140:141], v[40:41], v[120:123]// 000000005A9C: D3F30078 0DE2518C
	v_mfma_f32_16x16x32_fp8_fp8 v[116:119], a[126:127], v[42:43], v[116:119]// 000000005AA4: D3F30074 0DD2557E
	v_mfma_f32_16x16x32_fp8_fp8 v[120:123], a[142:143], v[42:43], v[120:123]// 000000005AAC: D3F30078 0DE2558E
	s_waitcnt lgkmcnt(1)                                       // 000000005AB4: BF8CC17F
	v_mfma_f32_16x16x32_fp8_fp8 v[116:119], a[128:129], v[44:45], v[116:119]// 000000005AB8: D3F30074 0DD25980
	v_mfma_f32_16x16x32_fp8_fp8 v[120:123], a[144:145], v[44:45], v[120:123]// 000000005AC0: D3F30078 0DE25990
	v_mfma_f32_16x16x32_fp8_fp8 v[116:119], a[130:131], v[46:47], v[116:119]// 000000005AC8: D3F30074 0DD25D82
	v_mfma_f32_16x16x32_fp8_fp8 v[120:123], a[146:147], v[46:47], v[120:123]// 000000005AD0: D3F30078 0DE25D92
	s_waitcnt lgkmcnt(0)                                       // 000000005AD8: BF8CC07F
	v_mfma_f32_16x16x32_fp8_fp8 v[116:119], a[132:133], v[48:49], v[116:119]// 000000005ADC: D3F30074 0DD26184
	v_mfma_f32_16x16x32_fp8_fp8 v[120:123], a[148:149], v[48:49], v[120:123]// 000000005AE4: D3F30078 0DE26194
	v_mfma_f32_16x16x32_fp8_fp8 v[116:119], a[134:135], v[50:51], v[116:119]// 000000005AEC: D3F30074 0DD26586
	v_mfma_f32_16x16x32_fp8_fp8 v[120:123], a[150:151], v[50:51], v[120:123]// 000000005AF4: D3F30078 0DE26596
	s_addk_i32 s64, 0x100                                      // 000000005AFC: B7400100
	s_cmp_lt_i32 s64, s63                                      // 000000005B00: BF043F40
	s_cbranch_scc0 label_3536                                  // 000000005B04: BF842874
	s_waitcnt vmcnt(10)                                        // 000000005B08: BF8C0F7A
	v_mfma_f32_16x16x32_fp8_fp8 v[4:7], a[24:25], a[0:1], 0    // 000000005B0C: D3F30004 1A020118
	s_add_u32 s12, s86, s69                                    // 000000005B14: 800C4556
	s_addc_u32 s13, s87, 0                                     // 000000005B18: 820D8057
	v_mfma_f32_16x16x32_fp8_fp8 v[4:7], a[26:27], a[2:3], v[4:7]// 000000005B1C: D3F30004 1C12051A
	s_add_u32 s16, s88, s70                                    // 000000005B24: 80104658
	s_addc_u32 s17, s89, 0                                     // 000000005B28: 82118059
	v_mfma_f32_16x16x32_fp8_fp8 v[4:7], a[28:29], a[4:5], v[4:7]// 000000005B2C: D3F30004 1C12091C
	buffer_load_dwordx4 a[56:59], v232, s[12:15], 0 offen      // 000000005B34: E05C1000 808338E8
	v_mfma_f32_16x16x32_fp8_fp8 v[4:7], a[30:31], a[6:7], v[4:7]// 000000005B3C: D3F30004 1C120D1E
	s_add_u32 s20, s90, s71                                    // 000000005B44: 8014475A
	s_addc_u32 s21, s91, 0                                     // 000000005B48: 8215805B
	v_mfma_f32_16x16x32_fp8_fp8 v[8:11], a[32:33], a[0:1], 0   // 000000005B4C: D3F30008 1A020120
	s_add_u32 s24, s92, s71                                    // 000000005B54: 8018475C
	s_addc_u32 s25, s93, 0                                     // 000000005B58: 8219805D
	v_mfma_f32_16x16x32_fp8_fp8 v[8:11], a[34:35], a[2:3], v[8:11]// 000000005B5C: D3F30008 1C220522
	s_mul_i32 s69, s59, s50                                    // 000000005B64: 9245323B
	s_mul_i32 s71, s59, s66                                    // 000000005B68: 9247423B
	v_mfma_f32_16x16x32_fp8_fp8 v[8:11], a[36:37], a[4:5], v[8:11]// 000000005B6C: D3F30008 1C220924
	buffer_load_dwordx4 a[60:63], v233, s[12:15], 0 offen      // 000000005B74: E05C1000 80833CE9
	v_mfma_f32_16x16x32_fp8_fp8 v[8:11], a[38:39], a[6:7], v[8:11]// 000000005B7C: D3F30008 1C220D26
	s_mul_i32 s54, s78, s51                                    // 000000005B84: 9236334E
	s_add_u32 s69, s69, s54                                    // 000000005B88: 80453645
	v_mfma_f32_16x16x32_fp8_fp8 v[12:15], a[40:41], a[0:1], 0  // 000000005B8C: D3F3000C 1A020128
	s_mov_b32 s70, s69                                         // 000000005B94: BEC60045
	v_mfma_f32_16x16x32_fp8_fp8 v[12:15], a[42:43], a[2:3], v[12:15]// 000000005B98: D3F3000C 1C32052A
	s_mul_i32 s54, s78, s101                                   // 000000005BA0: 9236654E
	s_add_u32 s71, s71, s54                                    // 000000005BA4: 80473647
	v_mfma_f32_16x16x32_fp8_fp8 v[12:15], a[44:45], a[4:5], v[12:15]// 000000005BA8: D3F3000C 1C32092C
	buffer_load_dwordx4 a[64:67], v232, s[12:15], 0 offen offset:1024// 000000005BB0: E05C1400 808340E8
	v_mfma_f32_16x16x32_fp8_fp8 v[12:15], a[46:47], a[6:7], v[12:15]// 000000005BB8: D3F3000C 1C320D2E
	v_mfma_f32_16x16x32_fp8_fp8 v[16:19], a[48:49], a[0:1], 0  // 000000005BC0: D3F30010 1A020130
	v_mfma_f32_16x16x32_fp8_fp8 v[16:19], a[50:51], a[2:3], v[16:19]// 000000005BC8: D3F30010 1C420532
	v_mfma_f32_16x16x32_fp8_fp8 v[16:19], a[52:53], a[4:5], v[16:19]// 000000005BD0: D3F30010 1C420934
	buffer_load_dwordx4 a[68:71], v233, s[12:15], 0 offen offset:1024// 000000005BD8: E05C1400 808344E9
	v_mfma_f32_16x16x32_fp8_fp8 v[16:19], a[54:55], a[6:7], v[16:19]// 000000005BE0: D3F30010 1C420D36
	v_mfma_f32_16x16x32_fp8_fp8 v[20:23], a[24:25], a[8:9], 0  // 000000005BE8: D3F30014 1A021118
	v_mfma_f32_16x16x32_fp8_fp8 v[20:23], a[26:27], a[10:11], v[20:23]// 000000005BF0: D3F30014 1C52151A
	v_mfma_f32_16x16x32_fp8_fp8 v[20:23], a[28:29], a[12:13], v[20:23]// 000000005BF8: D3F30014 1C52191C
	buffer_load_dwordx4 a[72:75], v232, s[12:15], 0 offen offset:2048// 000000005C00: E05C1800 808348E8
	v_mfma_f32_16x16x32_fp8_fp8 v[20:23], a[30:31], a[14:15], v[20:23]// 000000005C08: D3F30014 1C521D1E
	v_mfma_f32_16x16x32_fp8_fp8 v[24:27], a[32:33], a[8:9], 0  // 000000005C10: D3F30018 1A021120
	v_mfma_f32_16x16x32_fp8_fp8 v[24:27], a[34:35], a[10:11], v[24:27]// 000000005C18: D3F30018 1C621522
	v_mfma_f32_16x16x32_fp8_fp8 v[24:27], a[36:37], a[12:13], v[24:27]// 000000005C20: D3F30018 1C621924
	buffer_load_dwordx4 a[76:79], v233, s[12:15], 0 offen offset:2048// 000000005C28: E05C1800 80834CE9
	v_mfma_f32_16x16x32_fp8_fp8 v[24:27], a[38:39], a[14:15], v[24:27]// 000000005C30: D3F30018 1C621D26
	v_mfma_f32_16x16x32_fp8_fp8 v[28:31], a[40:41], a[8:9], 0  // 000000005C38: D3F3001C 1A021128
	v_mfma_f32_16x16x32_fp8_fp8 v[28:31], a[42:43], a[10:11], v[28:31]// 000000005C40: D3F3001C 1C72152A
	v_mfma_f32_16x16x32_fp8_fp8 v[28:31], a[44:45], a[12:13], v[28:31]// 000000005C48: D3F3001C 1C72192C
	buffer_load_dwordx4 a[80:83], v232, s[12:15], 0 offen offset:3072// 000000005C50: E05C1C00 808350E8
	v_mfma_f32_16x16x32_fp8_fp8 v[28:31], a[46:47], a[14:15], v[28:31]// 000000005C58: D3F3001C 1C721D2E
	v_mfma_f32_16x16x32_fp8_fp8 v[32:35], a[48:49], a[8:9], 0  // 000000005C60: D3F30020 1A021130
	v_mfma_f32_16x16x32_fp8_fp8 v[32:35], a[50:51], a[10:11], v[32:35]// 000000005C68: D3F30020 1C821532
	v_mfma_f32_16x16x32_fp8_fp8 v[32:35], a[52:53], a[12:13], v[32:35]// 000000005C70: D3F30020 1C821934
	buffer_load_dwordx4 a[84:87], v233, s[12:15], 0 offen offset:3072// 000000005C78: E05C1C00 808354E9
	v_mfma_f32_16x16x32_fp8_fp8 v[32:35], a[54:55], a[14:15], v[32:35]// 000000005C80: D3F30020 1C821D36
	v_mfma_f32_16x16x32_fp8_fp8 v[36:39], a[24:25], a[16:17], 0// 000000005C88: D3F30024 1A022118
	v_mfma_f32_16x16x32_fp8_fp8 v[36:39], a[26:27], a[18:19], v[36:39]// 000000005C90: D3F30024 1C92251A
	v_mfma_f32_16x16x32_fp8_fp8 v[36:39], a[28:29], a[20:21], v[36:39]// 000000005C98: D3F30024 1C92291C
	v_mfma_f32_16x16x32_fp8_fp8 v[36:39], a[30:31], a[22:23], v[36:39]// 000000005CA0: D3F30024 1C922D1E
	v_mfma_f32_16x16x32_fp8_fp8 v[40:43], a[32:33], a[16:17], 0// 000000005CA8: D3F30028 1A022120
	v_mfma_f32_16x16x32_fp8_fp8 v[40:43], a[34:35], a[18:19], v[40:43]// 000000005CB0: D3F30028 1CA22522
	v_mfma_f32_16x16x32_fp8_fp8 v[40:43], a[36:37], a[20:21], v[40:43]// 000000005CB8: D3F30028 1CA22924
	v_mfma_f32_16x16x32_fp8_fp8 v[40:43], a[38:39], a[22:23], v[40:43]// 000000005CC0: D3F30028 1CA22D26
	v_mfma_f32_16x16x32_fp8_fp8 v[44:47], a[40:41], a[16:17], 0// 000000005CC8: D3F3002C 1A022128
	v_mfma_f32_16x16x32_fp8_fp8 v[44:47], a[42:43], a[18:19], v[44:47]// 000000005CD0: D3F3002C 1CB2252A
	v_mfma_f32_16x16x32_fp8_fp8 v[44:47], a[44:45], a[20:21], v[44:47]// 000000005CD8: D3F3002C 1CB2292C
	v_mfma_f32_16x16x32_fp8_fp8 v[44:47], a[46:47], a[22:23], v[44:47]// 000000005CE0: D3F3002C 1CB22D2E
	v_mfma_f32_16x16x32_fp8_fp8 v[48:51], a[48:49], a[16:17], 0// 000000005CE8: D3F30030 1A022130
	v_mfma_f32_16x16x32_fp8_fp8 v[48:51], a[50:51], a[18:19], v[48:51]// 000000005CF0: D3F30030 1CC22532
	v_mfma_f32_16x16x32_fp8_fp8 v[48:51], a[52:53], a[20:21], v[48:51]// 000000005CF8: D3F30030 1CC22934
	v_mfma_f32_16x16x32_fp8_fp8 v[48:51], a[54:55], a[22:23], v[48:51]// 000000005D00: D3F30030 1CC22D36
	s_waitcnt vmcnt(16)                                        // 000000005D08: BF8C4F70
	v_or_b32_dpp v36, v44, v36 row_shr:8 row_mask:0xf bank_mask:0xf bound_ctrl:1// 000000005D0C: 284848FA FF09182C
	v_or_b32_dpp v37, v45, v37 row_shr:8 row_mask:0xf bank_mask:0xf bound_ctrl:1// 000000005D14: 284A4AFA FF09182D
	v_or_b32_dpp v38, v46, v38 row_shr:8 row_mask:0xf bank_mask:0xf bound_ctrl:1// 000000005D1C: 284C4CFA FF09182E
	v_or_b32_dpp v39, v47, v39 row_shr:8 row_mask:0xf bank_mask:0xf bound_ctrl:1// 000000005D24: 284E4EFA FF09182F
	v_or_b32_dpp v40, v48, v40 row_shr:8 row_mask:0xf bank_mask:0xf bound_ctrl:1// 000000005D2C: 285050FA FF091830
	v_or_b32_dpp v41, v49, v41 row_shr:8 row_mask:0xf bank_mask:0xf bound_ctrl:1// 000000005D34: 285252FA FF091831
	v_or_b32_dpp v42, v50, v42 row_shr:8 row_mask:0xf bank_mask:0xf bound_ctrl:1// 000000005D3C: 285454FA FF091832
	v_or_b32_dpp v43, v51, v43 row_shr:8 row_mask:0xf bank_mask:0xf bound_ctrl:1// 000000005D44: 285656FA FF091833
	v_mov_b32_dpp v168, v154 row_shr:4 row_mask:0xf bank_mask:0xf// 000000005D4C: 7F5002FA FF01149A
	v_mov_b32_dpp v169, v154 row_shl:4 row_mask:0xf bank_mask:0xf// 000000005D54: 7F5202FA FF01049A
	v_cndmask_b32_e64 v164, v154, v168, s[2:3]                 // 000000005D5C: D10000A4 000B519A
	v_cndmask_b32_e64 v165, v169, v154, s[2:3]                 // 000000005D64: D10000A5 000B35A9
	v_mov_b32_dpp v168, v156 row_shr:4 row_mask:0xf bank_mask:0xf// 000000005D6C: 7F5002FA FF01149C
	v_mov_b32_dpp v169, v156 row_shl:4 row_mask:0xf bank_mask:0xf// 000000005D74: 7F5202FA FF01049C
	v_cndmask_b32_e64 v166, v156, v168, s[2:3]                 // 000000005D7C: D10000A6 000B519C
	v_cndmask_b32_e64 v167, v169, v156, s[2:3]                 // 000000005D84: D10000A7 000B39A9
	v_pk_mul_f32 v[4:5], v[148:149], v[4:5]                    // 000000005D8C: D3B14004 18020994
	v_pk_mul_f32 v[6:7], v[148:149], v[6:7]                    // 000000005D94: D3B14006 18020D94
	v_pk_mul_f32 v[8:9], v[148:149], v[8:9]                    // 000000005D9C: D3B14008 18021194
	v_pk_mul_f32 v[10:11], v[148:149], v[10:11]                // 000000005DA4: D3B1400A 18021594
	v_pk_mul_f32 v[12:13], v[148:149], v[12:13]                // 000000005DAC: D3B1400C 18021994
	v_pk_mul_f32 v[14:15], v[148:149], v[14:15]                // 000000005DB4: D3B1400E 18021D94
	v_pk_mul_f32 v[16:17], v[148:149], v[16:17]                // 000000005DBC: D3B14010 18022194
	v_pk_mul_f32 v[18:19], v[148:149], v[18:19]                // 000000005DC4: D3B14012 18022594
	v_mul_f32_dpp v4, v154, v4 row_newbcast:0 row_mask:0xf bank_mask:0xf// 000000005DCC: 0A0808FA FF01509A
	v_mul_f32_dpp v5, v154, v5 row_newbcast:1 row_mask:0xf bank_mask:0xf// 000000005DD4: 0A0A0AFA FF01519A
	v_mul_f32_dpp v6, v154, v6 row_newbcast:2 row_mask:0xf bank_mask:0xf// 000000005DDC: 0A0C0CFA FF01529A
	v_mul_f32_dpp v7, v154, v7 row_newbcast:3 row_mask:0xf bank_mask:0xf// 000000005DE4: 0A0E0EFA FF01539A
	v_mul_f32_dpp v8, v154, v8 row_newbcast:4 row_mask:0xf bank_mask:0xf// 000000005DEC: 0A1010FA FF01549A
	v_mul_f32_dpp v9, v154, v9 row_newbcast:5 row_mask:0xf bank_mask:0xf// 000000005DF4: 0A1212FA FF01559A
	v_mul_f32_dpp v10, v154, v10 row_newbcast:6 row_mask:0xf bank_mask:0xf// 000000005DFC: 0A1414FA FF01569A
	v_mul_f32_dpp v11, v154, v11 row_newbcast:7 row_mask:0xf bank_mask:0xf// 000000005E04: 0A1616FA FF01579A
	v_mul_f32_dpp v12, v154, v12 row_newbcast:8 row_mask:0xf bank_mask:0xf// 000000005E0C: 0A1818FA FF01589A
	v_mul_f32_dpp v13, v154, v13 row_newbcast:9 row_mask:0xf bank_mask:0xf// 000000005E14: 0A1A1AFA FF01599A
	v_mul_f32_dpp v14, v154, v14 row_newbcast:10 row_mask:0xf bank_mask:0xf// 000000005E1C: 0A1C1CFA FF015A9A
	v_mul_f32_dpp v15, v154, v15 row_newbcast:11 row_mask:0xf bank_mask:0xf// 000000005E24: 0A1E1EFA FF015B9A
	v_mul_f32_dpp v16, v154, v16 row_newbcast:12 row_mask:0xf bank_mask:0xf// 000000005E2C: 0A2020FA FF015C9A
	v_mul_f32_dpp v17, v154, v17 row_newbcast:13 row_mask:0xf bank_mask:0xf// 000000005E34: 0A2222FA FF015D9A
	v_mul_f32_dpp v18, v154, v18 row_newbcast:14 row_mask:0xf bank_mask:0xf// 000000005E3C: 0A2424FA FF015E9A
	v_mul_f32_dpp v19, v154, v19 row_newbcast:15 row_mask:0xf bank_mask:0xf// 000000005E44: 0A2626FA FF015F9A
	v_pk_mul_f32 v[20:21], v[150:151], v[20:21]                // 000000005E4C: D3B14014 18022996
	v_pk_mul_f32 v[22:23], v[150:151], v[22:23]                // 000000005E54: D3B14016 18022D96
	v_pk_mul_f32 v[24:25], v[150:151], v[24:25]                // 000000005E5C: D3B14018 18023196
	v_pk_mul_f32 v[26:27], v[150:151], v[26:27]                // 000000005E64: D3B1401A 18023596
	v_pk_mul_f32 v[28:29], v[150:151], v[28:29]                // 000000005E6C: D3B1401C 18023996
	v_pk_mul_f32 v[30:31], v[150:151], v[30:31]                // 000000005E74: D3B1401E 18023D96
	v_pk_mul_f32 v[32:33], v[150:151], v[32:33]                // 000000005E7C: D3B14020 18024196
	v_pk_mul_f32 v[34:35], v[150:151], v[34:35]                // 000000005E84: D3B14022 18024596
	v_mul_f32_dpp v20, v154, v20 row_newbcast:0 row_mask:0xf bank_mask:0xf// 000000005E8C: 0A2828FA FF01509A
	v_mul_f32_dpp v21, v154, v21 row_newbcast:1 row_mask:0xf bank_mask:0xf// 000000005E94: 0A2A2AFA FF01519A
	v_mul_f32_dpp v22, v154, v22 row_newbcast:2 row_mask:0xf bank_mask:0xf// 000000005E9C: 0A2C2CFA FF01529A
	v_mul_f32_dpp v23, v154, v23 row_newbcast:3 row_mask:0xf bank_mask:0xf// 000000005EA4: 0A2E2EFA FF01539A
	v_mul_f32_dpp v24, v154, v24 row_newbcast:4 row_mask:0xf bank_mask:0xf// 000000005EAC: 0A3030FA FF01549A
	v_mul_f32_dpp v25, v154, v25 row_newbcast:5 row_mask:0xf bank_mask:0xf// 000000005EB4: 0A3232FA FF01559A
	v_mul_f32_dpp v26, v154, v26 row_newbcast:6 row_mask:0xf bank_mask:0xf// 000000005EBC: 0A3434FA FF01569A
	v_mul_f32_dpp v27, v154, v27 row_newbcast:7 row_mask:0xf bank_mask:0xf// 000000005EC4: 0A3636FA FF01579A
	v_mul_f32_dpp v28, v154, v28 row_newbcast:8 row_mask:0xf bank_mask:0xf// 000000005ECC: 0A3838FA FF01589A
	v_mul_f32_dpp v29, v154, v29 row_newbcast:9 row_mask:0xf bank_mask:0xf// 000000005ED4: 0A3A3AFA FF01599A
	v_mul_f32_dpp v30, v154, v30 row_newbcast:10 row_mask:0xf bank_mask:0xf// 000000005EDC: 0A3C3CFA FF015A9A
	v_mul_f32_dpp v31, v154, v31 row_newbcast:11 row_mask:0xf bank_mask:0xf// 000000005EE4: 0A3E3EFA FF015B9A
	v_mul_f32_dpp v32, v154, v32 row_newbcast:12 row_mask:0xf bank_mask:0xf// 000000005EEC: 0A4040FA FF015C9A
	v_mul_f32_dpp v33, v154, v33 row_newbcast:13 row_mask:0xf bank_mask:0xf// 000000005EF4: 0A4242FA FF015D9A
	v_mul_f32_dpp v34, v154, v34 row_newbcast:14 row_mask:0xf bank_mask:0xf// 000000005EFC: 0A4444FA FF015E9A
	v_mul_f32_dpp v35, v154, v35 row_newbcast:15 row_mask:0xf bank_mask:0xf// 000000005F04: 0A4646FA FF015F9A
	v_pk_mul_f32 v[36:37], v[152:153], v[36:37]                // 000000005F0C: D3B14024 18024998
	v_pk_mul_f32 v[38:39], v[152:153], v[38:39]                // 000000005F14: D3B14026 18024D98
	v_pk_mul_f32 v[40:41], v[152:153], v[40:41]                // 000000005F1C: D3B14028 18025198
	v_pk_mul_f32 v[42:43], v[152:153], v[42:43]                // 000000005F24: D3B1402A 18025598
	v_mul_f32_dpp v36, v164, v36 quad_perm:[0,0,0,0] row_mask:0xf bank_mask:0xf// 000000005F2C: 0A4848FA FF0000A4
	v_mul_f32_dpp v37, v164, v37 quad_perm:[1,1,1,1] row_mask:0xf bank_mask:0xf// 000000005F34: 0A4A4AFA FF0055A4
	v_mul_f32_dpp v38, v164, v38 quad_perm:[2,2,2,2] row_mask:0xf bank_mask:0xf// 000000005F3C: 0A4C4CFA FF00AAA4
	v_mul_f32_dpp v39, v164, v39 quad_perm:[3,3,3,3] row_mask:0xf bank_mask:0xf// 000000005F44: 0A4E4EFA FF00FFA4
	v_mul_f32_dpp v40, v165, v40 quad_perm:[0,0,0,0] row_mask:0xf bank_mask:0xf// 000000005F4C: 0A5050FA FF0000A5
	v_mul_f32_dpp v41, v165, v41 quad_perm:[1,1,1,1] row_mask:0xf bank_mask:0xf// 000000005F54: 0A5252FA FF0055A5
	v_mul_f32_dpp v42, v165, v42 quad_perm:[2,2,2,2] row_mask:0xf bank_mask:0xf// 000000005F5C: 0A5454FA FF00AAA5
	v_mul_f32_dpp v43, v165, v43 quad_perm:[3,3,3,3] row_mask:0xf bank_mask:0xf// 000000005F64: 0A5656FA FF00FFA5
	v_mov_b32_e32 v190, v36                                    // 000000005F6C: 7F7C0324
	v_max3_f32 v190, v36, v37, v190                            // 000000005F70: D1D300BE 06FA4B24
	v_max3_f32 v190, v38, v39, v190                            // 000000005F78: D1D300BE 06FA4F26
	v_max3_f32 v190, v40, v41, v190                            // 000000005F80: D1D300BE 06FA5328
	v_max3_f32 v190, v42, v43, v190                            // 000000005F88: D1D300BE 06FA572A
	v_mov_b32_e32 v189, v20                                    // 000000005F90: 7F7A0314
	v_max3_f32 v189, v20, v21, v189                            // 000000005F94: D1D300BD 06F62B14
	v_max3_f32 v189, v22, v23, v189                            // 000000005F9C: D1D300BD 06F62F16
	v_max3_f32 v189, v24, v25, v189                            // 000000005FA4: D1D300BD 06F63318
	v_max3_f32 v189, v26, v27, v189                            // 000000005FAC: D1D300BD 06F6371A
	v_max3_f32 v189, v28, v29, v189                            // 000000005FB4: D1D300BD 06F63B1C
	v_max3_f32 v189, v30, v31, v189                            // 000000005FBC: D1D300BD 06F63F1E
	v_max3_f32 v189, v32, v33, v189                            // 000000005FC4: D1D300BD 06F64320
	v_max3_f32 v189, v34, v35, v189                            // 000000005FCC: D1D300BD 06F64722
	v_mov_b32_e32 v188, v4                                     // 000000005FD4: 7F780304
	v_max3_f32 v188, v4, v5, v188                              // 000000005FD8: D1D300BC 06F20B04
	v_max3_f32 v188, v6, v7, v188                              // 000000005FE0: D1D300BC 06F20F06
	v_max3_f32 v188, v8, v9, v188                              // 000000005FE8: D1D300BC 06F21308
	v_max3_f32 v188, v10, v11, v188                            // 000000005FF0: D1D300BC 06F2170A
	v_max3_f32 v188, v12, v13, v188                            // 000000005FF8: D1D300BC 06F21B0C
	v_max3_f32 v188, v14, v15, v188                            // 000000006000: D1D300BC 06F21F0E
	v_max3_f32 v188, v16, v17, v188                            // 000000006008: D1D300BC 06F22310
	v_max3_f32 v188, v18, v19, v188                            // 000000006010: D1D300BC 06F22712
	v_max_f32_dpp v190, v190, v190 row_ror:8 row_mask:0xf bank_mask:0xf// 000000006018: 177D7CFA FF0128BE
	ds_bpermute_b32 v172, v212, v188                           // 000000006020: D87E0000 AC00BCD4
	ds_bpermute_b32 v173, v213, v188                           // 000000006028: D87E0000 AD00BCD5
	ds_bpermute_b32 v174, v214, v188                           // 000000006030: D87E0000 AE00BCD6
	ds_bpermute_b32 v175, v212, v189                           // 000000006038: D87E0000 AF00BDD4
	ds_bpermute_b32 v176, v213, v189                           // 000000006040: D87E0000 B000BDD5
	ds_bpermute_b32 v177, v214, v189                           // 000000006048: D87E0000 B100BDD6
	ds_bpermute_b32 v178, v212, v190                           // 000000006050: D87E0000 B200BED4
	ds_bpermute_b32 v179, v213, v190                           // 000000006058: D87E0000 B300BED5
	ds_bpermute_b32 v180, v214, v190                           // 000000006060: D87E0000 B400BED6
	v_pk_mul_f32 v[124:125], v[200:201], v[124:125]            // 000000006068: D3B1407C 1802F9C8
	v_pk_mul_f32 v[126:127], v[200:201], v[126:127]            // 000000006070: D3B1407E 1802FDC8
	v_pk_mul_f32 v[128:129], v[200:201], v[128:129]            // 000000006078: D3B14080 180301C8
	v_pk_mul_f32 v[130:131], v[200:201], v[130:131]            // 000000006080: D3B14082 180305C8
	v_pk_mul_f32 v[132:133], v[202:203], v[132:133]            // 000000006088: D3B14084 180309CA
	v_pk_mul_f32 v[134:135], v[202:203], v[134:135]            // 000000006090: D3B14086 18030DCA
	v_pk_mul_f32 v[136:137], v[202:203], v[136:137]            // 000000006098: D3B14088 180311CA
	v_pk_mul_f32 v[138:139], v[202:203], v[138:139]            // 0000000060A0: D3B1408A 180315CA
	v_pk_mul_f32 v[140:141], v[204:205], v[140:141]            // 0000000060A8: D3B1408C 180319CC
	v_pk_mul_f32 v[142:143], v[204:205], v[142:143]            // 0000000060B0: D3B1408E 18031DCC
	v_pk_mul_f32 v[144:145], v[204:205], v[144:145]            // 0000000060B8: D3B14090 180321CC
	v_pk_mul_f32 v[146:147], v[204:205], v[146:147]            // 0000000060C0: D3B14092 180325CC
	s_waitcnt lgkmcnt(6)                                       // 0000000060C8: BF8CC67F
	v_max3_f32 v188, v172, v173, v188                          // 0000000060CC: D1D300BC 06F35BAC
	v_max_f32_e32 v188, v174, v188                             // 0000000060D4: 177979AE
	s_waitcnt lgkmcnt(3)                                       // 0000000060D8: BF8CC37F
	v_max3_f32 v189, v175, v176, v189                          // 0000000060DC: D1D300BD 06F761AF
	v_max_f32_e32 v189, v177, v189                             // 0000000060E4: 177B7BB1
	s_waitcnt lgkmcnt(0)                                       // 0000000060E8: BF8CC07F
	v_max3_f32 v190, v178, v179, v190                          // 0000000060EC: D1D300BE 06FB67B2
	v_max_f32_e32 v190, v180, v190                             // 0000000060F4: 177D7DB4
	ds_write_b128 v252, v[188:191]                             // 0000000060F8: D9BE0000 0000BCFC
	s_waitcnt lgkmcnt(0)                                       // 000000006100: BF8CC07F
	s_barrier                                                  // 000000006104: BF8A0000
	ds_read_b128 v[172:175], v253                              // 000000006108: D9FE0000 AC0000FD
	ds_read_b128 v[176:179], v253 offset:256                   // 000000006110: D9FE0100 B00000FD
	ds_read_b128 v[180:183], v253 offset:512                   // 000000006118: D9FE0200 B40000FD
	ds_read_b128 v[184:187], v253 offset:768                   // 000000006120: D9FE0300 B80000FD
	v_pk_mul_f32 v[100:101], v[158:159], v[100:101]            // 000000006128: D3B14064 1802C99E
	v_pk_mul_f32 v[102:103], v[158:159], v[102:103]            // 000000006130: D3B14066 1802CD9E
	v_pk_mul_f32 v[104:105], v[158:159], v[104:105]            // 000000006138: D3B14068 1802D19E
	v_pk_mul_f32 v[106:107], v[158:159], v[106:107]            // 000000006140: D3B1406A 1802D59E
	v_pk_mul_f32 v[108:109], v[160:161], v[108:109]            // 000000006148: D3B1406C 1802D9A0
	v_pk_mul_f32 v[110:111], v[160:161], v[110:111]            // 000000006150: D3B1406E 1802DDA0
	v_pk_mul_f32 v[112:113], v[160:161], v[112:113]            // 000000006158: D3B14070 1802E1A0
	v_pk_mul_f32 v[114:115], v[160:161], v[114:115]            // 000000006160: D3B14072 1802E5A0
	v_pk_mul_f32 v[116:117], v[162:163], v[116:117]            // 000000006168: D3B14074 1802E9A2
	v_pk_mul_f32 v[118:119], v[162:163], v[118:119]            // 000000006170: D3B14076 1802EDA2
	v_pk_mul_f32 v[120:121], v[162:163], v[120:121]            // 000000006178: D3B14078 1802F1A2
	v_pk_mul_f32 v[122:123], v[162:163], v[122:123]            // 000000006180: D3B1407A 1802F5A2
	s_waitcnt lgkmcnt(0)                                       // 000000006188: BF8CC07F
	v_max3_f32 v188, v172, v176, v188                          // 00000000618C: D1D300BC 06F361AC
	v_max3_f32 v189, v173, v177, v189                          // 000000006194: D1D300BD 06F763AD
	v_max3_f32 v190, v174, v178, v190                          // 00000000619C: D1D300BE 06FB65AE
	v_max3_f32 v188, v180, v184, v188                          // 0000000061A4: D1D300BC 06F371B4
	v_max3_f32 v189, v181, v185, v189                          // 0000000061AC: D1D300BD 06F773B5
	v_max3_f32 v190, v182, v186, v190                          // 0000000061B4: D1D300BE 06FB75B6
	v_max_f32_e32 v197, v188, v194                             // 0000000061BC: 178B85BC
	v_mul_f32_e64 v168, -s46, v197                             // 0000000061C0: D10500A8 20038A2E
	v_mov_b32_e32 v169, v168                                   // 0000000061C8: 7F5203A8
	v_pk_fma_f32 v[4:5], v[4:5], s[46:47], v[168:169]          // 0000000061CC: D3B04004 1EA05D04
	v_pk_fma_f32 v[6:7], v[6:7], s[46:47], v[168:169]          // 0000000061D4: D3B04006 1EA05D06
	v_exp_f32_e32 v4, v4                                       // 0000000061DC: 7E084104
	v_exp_f32_e32 v5, v5                                       // 0000000061E0: 7E0A4105
	v_exp_f32_e32 v6, v6                                       // 0000000061E4: 7E0C4106
	v_exp_f32_e32 v7, v7                                       // 0000000061E8: 7E0E4107
	v_pk_fma_f32 v[8:9], v[8:9], s[46:47], v[168:169]          // 0000000061EC: D3B04008 1EA05D08
	v_pk_fma_f32 v[10:11], v[10:11], s[46:47], v[168:169]      // 0000000061F4: D3B0400A 1EA05D0A
	v_exp_f32_e32 v8, v8                                       // 0000000061FC: 7E104108
	v_exp_f32_e32 v9, v9                                       // 000000006200: 7E124109
	v_exp_f32_e32 v10, v10                                     // 000000006204: 7E14410A
	v_exp_f32_e32 v11, v11                                     // 000000006208: 7E16410B
	v_pk_fma_f32 v[12:13], v[12:13], s[46:47], v[168:169]      // 00000000620C: D3B0400C 1EA05D0C
	v_pk_fma_f32 v[14:15], v[14:15], s[46:47], v[168:169]      // 000000006214: D3B0400E 1EA05D0E
	v_exp_f32_e32 v12, v12                                     // 00000000621C: 7E18410C
	v_exp_f32_e32 v13, v13                                     // 000000006220: 7E1A410D
	v_exp_f32_e32 v14, v14                                     // 000000006224: 7E1C410E
	v_exp_f32_e32 v15, v15                                     // 000000006228: 7E1E410F
	v_pk_fma_f32 v[16:17], v[16:17], s[46:47], v[168:169]      // 00000000622C: D3B04010 1EA05D10
	v_pk_fma_f32 v[18:19], v[18:19], s[46:47], v[168:169]      // 000000006234: D3B04012 1EA05D12
	v_exp_f32_e32 v16, v16                                     // 00000000623C: 7E204110
	v_exp_f32_e32 v17, v17                                     // 000000006240: 7E224111
	v_exp_f32_e32 v18, v18                                     // 000000006244: 7E244112
	v_exp_f32_e32 v19, v19                                     // 000000006248: 7E264113
	v_max_f32_e32 v198, v189, v195                             // 00000000624C: 178D87BD
	v_mul_f32_e64 v168, -s46, v198                             // 000000006250: D10500A8 20038C2E
	v_mov_b32_e32 v169, v168                                   // 000000006258: 7F5203A8
	v_pk_fma_f32 v[20:21], v[20:21], s[46:47], v[168:169]      // 00000000625C: D3B04014 1EA05D14
	v_pk_fma_f32 v[22:23], v[22:23], s[46:47], v[168:169]      // 000000006264: D3B04016 1EA05D16
	v_exp_f32_e32 v20, v20                                     // 00000000626C: 7E284114
	v_exp_f32_e32 v21, v21                                     // 000000006270: 7E2A4115
	v_exp_f32_e32 v22, v22                                     // 000000006274: 7E2C4116
	v_exp_f32_e32 v23, v23                                     // 000000006278: 7E2E4117
	v_pk_fma_f32 v[24:25], v[24:25], s[46:47], v[168:169]      // 00000000627C: D3B04018 1EA05D18
	v_pk_fma_f32 v[26:27], v[26:27], s[46:47], v[168:169]      // 000000006284: D3B0401A 1EA05D1A
	v_exp_f32_e32 v24, v24                                     // 00000000628C: 7E304118
	v_exp_f32_e32 v25, v25                                     // 000000006290: 7E324119
	v_exp_f32_e32 v26, v26                                     // 000000006294: 7E34411A
	v_exp_f32_e32 v27, v27                                     // 000000006298: 7E36411B
	v_pk_fma_f32 v[28:29], v[28:29], s[46:47], v[168:169]      // 00000000629C: D3B0401C 1EA05D1C
	v_pk_fma_f32 v[30:31], v[30:31], s[46:47], v[168:169]      // 0000000062A4: D3B0401E 1EA05D1E
	v_exp_f32_e32 v28, v28                                     // 0000000062AC: 7E38411C
	v_exp_f32_e32 v29, v29                                     // 0000000062B0: 7E3A411D
	v_exp_f32_e32 v30, v30                                     // 0000000062B4: 7E3C411E
	v_exp_f32_e32 v31, v31                                     // 0000000062B8: 7E3E411F
	v_pk_fma_f32 v[32:33], v[32:33], s[46:47], v[168:169]      // 0000000062BC: D3B04020 1EA05D20
	v_pk_fma_f32 v[34:35], v[34:35], s[46:47], v[168:169]      // 0000000062C4: D3B04022 1EA05D22
	v_exp_f32_e32 v32, v32                                     // 0000000062CC: 7E404120
	v_exp_f32_e32 v33, v33                                     // 0000000062D0: 7E424121
	v_exp_f32_e32 v34, v34                                     // 0000000062D4: 7E444122
	v_exp_f32_e32 v35, v35                                     // 0000000062D8: 7E464123
	v_max_f32_e32 v199, v190, v196                             // 0000000062DC: 178F89BE
	v_mul_f32_e64 v168, -s46, v199                             // 0000000062E0: D10500A8 20038E2E
	v_mov_b32_e32 v169, v168                                   // 0000000062E8: 7F5203A8
	v_pk_fma_f32 v[36:37], v[36:37], s[46:47], v[168:169]      // 0000000062EC: D3B04024 1EA05D24
	v_pk_fma_f32 v[38:39], v[38:39], s[46:47], v[168:169]      // 0000000062F4: D3B04026 1EA05D26
	v_exp_f32_e32 v36, v36                                     // 0000000062FC: 7E484124
	v_exp_f32_e32 v37, v37                                     // 000000006300: 7E4A4125
	v_exp_f32_e32 v38, v38                                     // 000000006304: 7E4C4126
	v_exp_f32_e32 v39, v39                                     // 000000006308: 7E4E4127
	v_pk_fma_f32 v[40:41], v[40:41], s[46:47], v[168:169]      // 00000000630C: D3B04028 1EA05D28
	v_pk_fma_f32 v[42:43], v[42:43], s[46:47], v[168:169]      // 000000006314: D3B0402A 1EA05D2A
	v_exp_f32_e32 v40, v40                                     // 00000000631C: 7E504128
	v_exp_f32_e32 v41, v41                                     // 000000006320: 7E524129
	v_exp_f32_e32 v42, v42                                     // 000000006324: 7E54412A
	v_exp_f32_e32 v43, v43                                     // 000000006328: 7E56412B
	v_mul_f32_dpp v52, v156, v4 row_newbcast:0 row_mask:0xf bank_mask:0xf// 00000000632C: 0A6808FA FF01509C
	v_mul_f32_dpp v53, v156, v5 row_newbcast:1 row_mask:0xf bank_mask:0xf// 000000006334: 0A6A0AFA FF01519C
	v_mul_f32_dpp v54, v156, v6 row_newbcast:2 row_mask:0xf bank_mask:0xf// 00000000633C: 0A6C0CFA FF01529C
	v_mul_f32_dpp v55, v156, v7 row_newbcast:3 row_mask:0xf bank_mask:0xf// 000000006344: 0A6E0EFA FF01539C
	v_mul_f32_dpp v56, v156, v8 row_newbcast:4 row_mask:0xf bank_mask:0xf// 00000000634C: 0A7010FA FF01549C
	v_mul_f32_dpp v57, v156, v9 row_newbcast:5 row_mask:0xf bank_mask:0xf// 000000006354: 0A7212FA FF01559C
	v_mul_f32_dpp v58, v156, v10 row_newbcast:6 row_mask:0xf bank_mask:0xf// 00000000635C: 0A7414FA FF01569C
	v_mul_f32_dpp v59, v156, v11 row_newbcast:7 row_mask:0xf bank_mask:0xf// 000000006364: 0A7616FA FF01579C
	v_mul_f32_dpp v60, v156, v12 row_newbcast:8 row_mask:0xf bank_mask:0xf// 00000000636C: 0A7818FA FF01589C
	v_mul_f32_dpp v61, v156, v13 row_newbcast:9 row_mask:0xf bank_mask:0xf// 000000006374: 0A7A1AFA FF01599C
	v_mul_f32_dpp v62, v156, v14 row_newbcast:10 row_mask:0xf bank_mask:0xf// 00000000637C: 0A7C1CFA FF015A9C
	v_mul_f32_dpp v63, v156, v15 row_newbcast:11 row_mask:0xf bank_mask:0xf// 000000006384: 0A7E1EFA FF015B9C
	v_mul_f32_dpp v64, v156, v16 row_newbcast:12 row_mask:0xf bank_mask:0xf// 00000000638C: 0A8020FA FF015C9C
	v_mul_f32_dpp v65, v156, v17 row_newbcast:13 row_mask:0xf bank_mask:0xf// 000000006394: 0A8222FA FF015D9C
	v_mul_f32_dpp v66, v156, v18 row_newbcast:14 row_mask:0xf bank_mask:0xf// 00000000639C: 0A8424FA FF015E9C
	v_mul_f32_dpp v67, v156, v19 row_newbcast:15 row_mask:0xf bank_mask:0xf// 0000000063A4: 0A8626FA FF015F9C
	v_mul_f32_dpp v68, v156, v20 row_newbcast:0 row_mask:0xf bank_mask:0xf// 0000000063AC: 0A8828FA FF01509C
	v_mul_f32_dpp v69, v156, v21 row_newbcast:1 row_mask:0xf bank_mask:0xf// 0000000063B4: 0A8A2AFA FF01519C
	v_mul_f32_dpp v70, v156, v22 row_newbcast:2 row_mask:0xf bank_mask:0xf// 0000000063BC: 0A8C2CFA FF01529C
	v_mul_f32_dpp v71, v156, v23 row_newbcast:3 row_mask:0xf bank_mask:0xf// 0000000063C4: 0A8E2EFA FF01539C
	v_mul_f32_dpp v72, v156, v24 row_newbcast:4 row_mask:0xf bank_mask:0xf// 0000000063CC: 0A9030FA FF01549C
	v_mul_f32_dpp v73, v156, v25 row_newbcast:5 row_mask:0xf bank_mask:0xf// 0000000063D4: 0A9232FA FF01559C
	v_mul_f32_dpp v74, v156, v26 row_newbcast:6 row_mask:0xf bank_mask:0xf// 0000000063DC: 0A9434FA FF01569C
	v_mul_f32_dpp v75, v156, v27 row_newbcast:7 row_mask:0xf bank_mask:0xf// 0000000063E4: 0A9636FA FF01579C
	v_mul_f32_dpp v76, v156, v28 row_newbcast:8 row_mask:0xf bank_mask:0xf// 0000000063EC: 0A9838FA FF01589C
	v_mul_f32_dpp v77, v156, v29 row_newbcast:9 row_mask:0xf bank_mask:0xf// 0000000063F4: 0A9A3AFA FF01599C
	v_mul_f32_dpp v78, v156, v30 row_newbcast:10 row_mask:0xf bank_mask:0xf// 0000000063FC: 0A9C3CFA FF015A9C
	v_mul_f32_dpp v79, v156, v31 row_newbcast:11 row_mask:0xf bank_mask:0xf// 000000006404: 0A9E3EFA FF015B9C
	v_mul_f32_dpp v80, v156, v32 row_newbcast:12 row_mask:0xf bank_mask:0xf// 00000000640C: 0AA040FA FF015C9C
	v_mul_f32_dpp v81, v156, v33 row_newbcast:13 row_mask:0xf bank_mask:0xf// 000000006414: 0AA242FA FF015D9C
	v_mul_f32_dpp v82, v156, v34 row_newbcast:14 row_mask:0xf bank_mask:0xf// 00000000641C: 0AA444FA FF015E9C
	v_mul_f32_dpp v83, v156, v35 row_newbcast:15 row_mask:0xf bank_mask:0xf// 000000006424: 0AA646FA FF015F9C
	v_mul_f32_dpp v84, v166, v36 quad_perm:[0,0,0,0] row_mask:0xf bank_mask:0xf// 00000000642C: 0AA848FA FF0000A6
	v_mul_f32_dpp v85, v166, v37 quad_perm:[1,1,1,1] row_mask:0xf bank_mask:0xf// 000000006434: 0AAA4AFA FF0055A6
	v_mul_f32_dpp v86, v166, v38 quad_perm:[2,2,2,2] row_mask:0xf bank_mask:0xf// 00000000643C: 0AAC4CFA FF00AAA6
	v_mul_f32_dpp v87, v166, v39 quad_perm:[3,3,3,3] row_mask:0xf bank_mask:0xf// 000000006444: 0AAE4EFA FF00FFA6
	v_mul_f32_dpp v88, v167, v40 quad_perm:[0,0,0,0] row_mask:0xf bank_mask:0xf// 00000000644C: 0AB050FA FF0000A7
	v_mul_f32_dpp v89, v167, v41 quad_perm:[1,1,1,1] row_mask:0xf bank_mask:0xf// 000000006454: 0AB252FA FF0055A7
	v_mul_f32_dpp v90, v167, v42 quad_perm:[2,2,2,2] row_mask:0xf bank_mask:0xf// 00000000645C: 0AB454FA FF00AAA7
	v_mul_f32_dpp v91, v167, v43 quad_perm:[3,3,3,3] row_mask:0xf bank_mask:0xf// 000000006464: 0AB656FA FF00FFA7
	v_mov_b32_e32 v190, 0x358637bd                             // 00000000646C: 7F7C02FF 358637BD
	v_max3_f32 v190, |v84|, |v85|, v190                        // 000000006474: D1D303BE 06FAAB54
	v_max3_f32 v190, |v86|, |v87|, v190                        // 00000000647C: D1D303BE 06FAAF56
	v_max3_f32 v190, |v88|, |v89|, v190                        // 000000006484: D1D303BE 06FAB358
	v_max3_f32 v190, |v90|, |v91|, v190                        // 00000000648C: D1D303BE 06FAB75A
	v_mov_b32_e32 v189, 0x358637bd                             // 000000006494: 7F7A02FF 358637BD
	v_max3_f32 v189, |v68|, |v69|, v189                        // 00000000649C: D1D303BD 06F68B44
	v_max3_f32 v189, |v70|, |v71|, v189                        // 0000000064A4: D1D303BD 06F68F46
	v_max3_f32 v189, |v72|, |v73|, v189                        // 0000000064AC: D1D303BD 06F69348
	v_max3_f32 v189, |v74|, |v75|, v189                        // 0000000064B4: D1D303BD 06F6974A
	v_max3_f32 v189, |v76|, |v77|, v189                        // 0000000064BC: D1D303BD 06F69B4C
	v_max3_f32 v189, |v78|, |v79|, v189                        // 0000000064C4: D1D303BD 06F69F4E
	v_max3_f32 v189, |v80|, |v81|, v189                        // 0000000064CC: D1D303BD 06F6A350
	v_max3_f32 v189, |v82|, |v83|, v189                        // 0000000064D4: D1D303BD 06F6A752
	v_mov_b32_e32 v188, 0x358637bd                             // 0000000064DC: 7F7802FF 358637BD
	v_max3_f32 v188, |v52|, |v53|, v188                        // 0000000064E4: D1D303BC 06F26B34
	v_max3_f32 v188, |v54|, |v55|, v188                        // 0000000064EC: D1D303BC 06F26F36
	v_max3_f32 v188, |v56|, |v57|, v188                        // 0000000064F4: D1D303BC 06F27338
	v_max3_f32 v188, |v58|, |v59|, v188                        // 0000000064FC: D1D303BC 06F2773A
	v_max3_f32 v188, |v60|, |v61|, v188                        // 000000006504: D1D303BC 06F27B3C
	v_max3_f32 v188, |v62|, |v63|, v188                        // 00000000650C: D1D303BC 06F27F3E
	v_max3_f32 v188, |v64|, |v65|, v188                        // 000000006514: D1D303BC 06F28340
	v_max3_f32 v188, |v66|, |v67|, v188                        // 00000000651C: D1D303BC 06F28742
	v_max_f32_dpp v190, v190, v190 row_ror:8 row_mask:0xf bank_mask:0xf// 000000006524: 177D7CFA FF0128BE
	ds_bpermute_b32 v172, v212, v188                           // 00000000652C: D87E0000 AC00BCD4
	ds_bpermute_b32 v173, v213, v188                           // 000000006534: D87E0000 AD00BCD5
	ds_bpermute_b32 v174, v214, v188                           // 00000000653C: D87E0000 AE00BCD6
	ds_bpermute_b32 v175, v212, v189                           // 000000006544: D87E0000 AF00BDD4
	ds_bpermute_b32 v176, v213, v189                           // 00000000654C: D87E0000 B000BDD5
	ds_bpermute_b32 v177, v214, v189                           // 000000006554: D87E0000 B100BDD6
	ds_bpermute_b32 v178, v212, v190                           // 00000000655C: D87E0000 B200BED4
	ds_bpermute_b32 v179, v213, v190                           // 000000006564: D87E0000 B300BED5
	ds_bpermute_b32 v180, v214, v190                           // 00000000656C: D87E0000 B400BED6
	s_waitcnt lgkmcnt(6)                                       // 000000006574: BF8CC67F
	v_max3_f32 v188, v172, v173, v188                          // 000000006578: D1D300BC 06F35BAC
	v_max_f32_e32 v188, v174, v188                             // 000000006580: 177979AE
	s_waitcnt lgkmcnt(3)                                       // 000000006584: BF8CC37F
	v_max3_f32 v189, v175, v176, v189                          // 000000006588: D1D300BD 06F761AF
	v_max_f32_e32 v189, v177, v189                             // 000000006590: 177B7BB1
	s_waitcnt lgkmcnt(0)                                       // 000000006594: BF8CC07F
	v_max3_f32 v190, v178, v179, v190                          // 000000006598: D1D300BE 06FB67B2
	v_max_f32_e32 v190, v180, v190                             // 0000000065A0: 177D7DB4
	ds_write_b128 v252, v[188:191] offset:4096                 // 0000000065A4: D9BE1000 0000BCFC
	buffer_load_dword v155, v238, s[20:23], 0 offen            // 0000000065AC: E0501000 80059BEE
	v_sub_f32_e32 v200, v194, v197                             // 0000000065B4: 05918BC2
	v_cmp_eq_u32_e64 s[98:99], v225, v194                      // 0000000065B8: D0CA0062 000385E1
	v_cndmask_b32_e64 v200, v200, 0, s[98:99]                  // 0000000065C0: D10000C8 018901C8
	v_mov_b32_e32 v194, v197                                   // 0000000065C8: 7F8403C5
	v_mul_f32_e32 v200, s46, v200                              // 0000000065CC: 0B91902E
	v_exp_f32_e32 v200, v200                                   // 0000000065D0: 7F9041C8
	v_sub_f32_e32 v202, v195, v198                             // 0000000065D4: 05958DC3
	v_cmp_eq_u32_e64 s[98:99], v225, v195                      // 0000000065D8: D0CA0062 000387E1
	v_cndmask_b32_e64 v202, v202, 0, s[98:99]                  // 0000000065E0: D10000CA 018901CA
	v_mov_b32_e32 v195, v198                                   // 0000000065E8: 7F8603C6
	v_mul_f32_e32 v202, s46, v202                              // 0000000065EC: 0B95942E
	v_exp_f32_e32 v202, v202                                   // 0000000065F0: 7F9441CA
	v_sub_f32_e32 v204, v196, v199                             // 0000000065F4: 05998FC4
	v_cmp_eq_u32_e64 s[98:99], v225, v196                      // 0000000065F8: D0CA0062 000389E1
	v_cndmask_b32_e64 v204, v204, 0, s[98:99]                  // 000000006600: D10000CC 018901CC
	v_mov_b32_e32 v196, v199                                   // 000000006608: 7F8803C7
	v_mul_f32_e32 v204, s46, v204                              // 00000000660C: 0B99982E
	v_exp_f32_e32 v204, v204                                   // 000000006610: 7F9841CC
	v_mov_b32_e32 v201, v200                                   // 000000006614: 7F9203C8
	v_mov_b32_e32 v203, v202                                   // 000000006618: 7F9603CA
	v_mov_b32_e32 v205, v204                                   // 00000000661C: 7F9A03CC
	s_waitcnt lgkmcnt(0)                                       // 000000006620: BF8CC07F
	s_barrier                                                  // 000000006624: BF8A0000
	ds_read_b128 v[172:175], v253 offset:4096                  // 000000006628: D9FE1000 AC0000FD
	ds_read_b128 v[176:179], v253 offset:4352                  // 000000006630: D9FE1100 B00000FD
	ds_read_b128 v[180:183], v253 offset:4608                  // 000000006638: D9FE1200 B40000FD
	ds_read_b128 v[184:187], v253 offset:4864                  // 000000006640: D9FE1300 B80000FD
	buffer_load_dword v157, v239, s[24:27], 0 offen            // 000000006648: E0501000 80069DEF
	v_mul_f32_e32 v206, v200, v206                             // 000000006650: 0B9D9DC8
	v_mov_b32_e32 v207, 0                                      // 000000006654: 7F9E0280
	v_pk_add_f32 v[206:207], v[4:5], v[206:207]                // 000000006658: D3B240CE 18039D04
	v_pk_add_f32 v[206:207], v[6:7], v[206:207]                // 000000006660: D3B240CE 18039D06
	v_pk_add_f32 v[206:207], v[8:9], v[206:207]                // 000000006668: D3B240CE 18039D08
	v_pk_add_f32 v[206:207], v[10:11], v[206:207]              // 000000006670: D3B240CE 18039D0A
	v_pk_add_f32 v[206:207], v[12:13], v[206:207]              // 000000006678: D3B240CE 18039D0C
	v_pk_add_f32 v[206:207], v[14:15], v[206:207]              // 000000006680: D3B240CE 18039D0E
	v_pk_add_f32 v[206:207], v[16:17], v[206:207]              // 000000006688: D3B240CE 18039D10
	v_pk_add_f32 v[206:207], v[18:19], v[206:207]              // 000000006690: D3B240CE 18039D12
	v_add_f32_e32 v206, v207, v206                             // 000000006698: 039D9DCF
	v_mul_f32_e32 v208, v202, v208                             // 00000000669C: 0BA1A1CA
	v_mov_b32_e32 v209, 0                                      // 0000000066A0: 7FA20280
	v_pk_add_f32 v[208:209], v[20:21], v[208:209]              // 0000000066A4: D3B240D0 1803A114
	v_pk_add_f32 v[208:209], v[22:23], v[208:209]              // 0000000066AC: D3B240D0 1803A116
	v_pk_add_f32 v[208:209], v[24:25], v[208:209]              // 0000000066B4: D3B240D0 1803A118
	v_pk_add_f32 v[208:209], v[26:27], v[208:209]              // 0000000066BC: D3B240D0 1803A11A
	v_pk_add_f32 v[208:209], v[28:29], v[208:209]              // 0000000066C4: D3B240D0 1803A11C
	v_pk_add_f32 v[208:209], v[30:31], v[208:209]              // 0000000066CC: D3B240D0 1803A11E
	v_pk_add_f32 v[208:209], v[32:33], v[208:209]              // 0000000066D4: D3B240D0 1803A120
	v_pk_add_f32 v[208:209], v[34:35], v[208:209]              // 0000000066DC: D3B240D0 1803A122
	v_add_f32_e32 v208, v209, v208                             // 0000000066E4: 03A1A1D1
	v_mul_f32_e32 v210, v204, v210                             // 0000000066E8: 0BA5A5CC
	v_mov_b32_e32 v211, 0                                      // 0000000066EC: 7FA60280
	v_pk_add_f32 v[210:211], v[36:37], v[210:211]              // 0000000066F0: D3B240D2 1803A524
	v_pk_add_f32 v[210:211], v[38:39], v[210:211]              // 0000000066F8: D3B240D2 1803A526
	v_pk_add_f32 v[210:211], v[40:41], v[210:211]              // 000000006700: D3B240D2 1803A528
	v_pk_add_f32 v[210:211], v[42:43], v[210:211]              // 000000006708: D3B240D2 1803A52A
	v_add_f32_e32 v210, v211, v210                             // 000000006710: 03A5A5D3
	s_waitcnt lgkmcnt(0)                                       // 000000006714: BF8CC07F
	v_max3_f32 v188, v172, v176, v188                          // 000000006718: D1D300BC 06F361AC
	v_max3_f32 v189, v173, v177, v189                          // 000000006720: D1D300BD 06F763AD
	v_max3_f32 v190, v174, v178, v190                          // 000000006728: D1D300BE 06FB65AE
	v_max3_f32 v188, v180, v184, v188                          // 000000006730: D1D300BC 06F371B4
	v_max3_f32 v189, v181, v185, v189                          // 000000006738: D1D300BD 06F773B5
	v_max3_f32 v190, v182, v186, v190                          // 000000006740: D1D300BE 06FB75B6
	v_rcp_f32_e32 v188, v188                                   // 000000006748: 7F7845BC
	v_rcp_f32_e32 v189, v189                                   // 00000000674C: 7F7A45BD
	v_rcp_f32_e32 v190, v190                                   // 000000006750: 7F7C45BE
	v_mul_f32_e32 v188, 0x43700000, v188                       // 000000006754: 0B7978FF 43700000
	v_mul_f32_e32 v189, 0x43700000, v189                       // 00000000675C: 0B7B7AFF 43700000
	v_mul_f32_e32 v190, 0x43700000, v190                       // 000000006764: 0B7D7CFF 43700000
	v_mov_b32_e32 v192, v190                                   // 00000000676C: 7F8003BE
	v_mov_b32_e32 v193, v190                                   // 000000006770: 7F8203BE
	v_mov_b32_e32 v190, v189                                   // 000000006774: 7F7C03BD
	v_mov_b32_e32 v191, v189                                   // 000000006778: 7F7E03BD
	v_mov_b32_e32 v189, v188                                   // 00000000677C: 7F7A03BC
	v_pk_mul_f32 v[4:5], v[188:189], v[52:53]                  // 000000006780: D3B14004 180269BC
	v_pk_mul_f32 v[6:7], v[188:189], v[54:55]                  // 000000006788: D3B14006 18026DBC
	v_pk_mul_f32 v[8:9], v[188:189], v[56:57]                  // 000000006790: D3B14008 180271BC
	v_pk_mul_f32 v[10:11], v[188:189], v[58:59]                // 000000006798: D3B1400A 180275BC
	v_pk_mul_f32 v[12:13], v[188:189], v[60:61]                // 0000000067A0: D3B1400C 180279BC
	v_pk_mul_f32 v[14:15], v[188:189], v[62:63]                // 0000000067A8: D3B1400E 18027DBC
	v_pk_mul_f32 v[16:17], v[188:189], v[64:65]                // 0000000067B0: D3B14010 180281BC
	v_pk_mul_f32 v[18:19], v[188:189], v[66:67]                // 0000000067B8: D3B14012 180285BC
	v_pk_mul_f32 v[20:21], v[190:191], v[68:69]                // 0000000067C0: D3B14014 180289BE
	v_pk_mul_f32 v[22:23], v[190:191], v[70:71]                // 0000000067C8: D3B14016 18028DBE
	v_pk_mul_f32 v[24:25], v[190:191], v[72:73]                // 0000000067D0: D3B14018 180291BE
	v_pk_mul_f32 v[26:27], v[190:191], v[74:75]                // 0000000067D8: D3B1401A 180295BE
	v_pk_mul_f32 v[28:29], v[190:191], v[76:77]                // 0000000067E0: D3B1401C 180299BE
	v_pk_mul_f32 v[30:31], v[190:191], v[78:79]                // 0000000067E8: D3B1401E 18029DBE
	v_pk_mul_f32 v[32:33], v[190:191], v[80:81]                // 0000000067F0: D3B14020 1802A1BE
	v_pk_mul_f32 v[34:35], v[190:191], v[82:83]                // 0000000067F8: D3B14022 1802A5BE
	v_pk_mul_f32 v[36:37], v[192:193], v[84:85]                // 000000006800: D3B14024 1802A9C0
	v_pk_mul_f32 v[38:39], v[192:193], v[86:87]                // 000000006808: D3B14026 1802ADC0
	v_pk_mul_f32 v[40:41], v[192:193], v[88:89]                // 000000006810: D3B14028 1802B1C0
	v_pk_mul_f32 v[42:43], v[192:193], v[90:91]                // 000000006818: D3B1402A 1802B5C0
	v_cvt_pk_fp8_f32 v4, v4, v5                                // 000000006820: D2A20004 00020B04
	v_cvt_pk_fp8_f32 v4, v6, v7 op_sel:[0,0,1]                 // 000000006828: D2A24004 00020F06
	v_cvt_pk_fp8_f32 v5, v8, v9                                // 000000006830: D2A20005 00021308
	v_cvt_pk_fp8_f32 v5, v10, v11 op_sel:[0,0,1]               // 000000006838: D2A24005 0002170A
	v_cvt_pk_fp8_f32 v6, v12, v13                              // 000000006840: D2A20006 00021B0C
	v_cvt_pk_fp8_f32 v6, v14, v15 op_sel:[0,0,1]               // 000000006848: D2A24006 00021F0E
	v_cvt_pk_fp8_f32 v7, v16, v17                              // 000000006850: D2A20007 00022310
	v_cvt_pk_fp8_f32 v7, v18, v19 op_sel:[0,0,1]               // 000000006858: D2A24007 00022712
	v_cvt_pk_fp8_f32 v8, v20, v21                              // 000000006860: D2A20008 00022B14
	v_cvt_pk_fp8_f32 v8, v22, v23 op_sel:[0,0,1]               // 000000006868: D2A24008 00022F16
	v_cvt_pk_fp8_f32 v9, v24, v25                              // 000000006870: D2A20009 00023318
	v_cvt_pk_fp8_f32 v9, v26, v27 op_sel:[0,0,1]               // 000000006878: D2A24009 0002371A
	v_cvt_pk_fp8_f32 v10, v28, v29                             // 000000006880: D2A2000A 00023B1C
	v_cvt_pk_fp8_f32 v10, v30, v31 op_sel:[0,0,1]              // 000000006888: D2A2400A 00023F1E
	v_cvt_pk_fp8_f32 v11, v32, v33                             // 000000006890: D2A2000B 00024320
	v_cvt_pk_fp8_f32 v11, v34, v35 op_sel:[0,0,1]              // 000000006898: D2A2400B 00024722
	v_cvt_pk_fp8_f32 v12, v36, v37                             // 0000000068A0: D2A2000C 00024B24
	v_cvt_pk_fp8_f32 v12, v38, v39 op_sel:[0,0,1]              // 0000000068A8: D2A2400C 00024F26
	v_cvt_pk_fp8_f32 v13, v40, v41                             // 0000000068B0: D2A2000D 00025328
	v_cvt_pk_fp8_f32 v13, v42, v43 op_sel:[0,0,1]              // 0000000068B8: D2A2400D 0002572A
	v_mov_b32_dpp v14, v12 row_shl:8 row_mask:0xf bank_mask:0xf bound_ctrl:1// 0000000068C0: 7E1C02FA FF09080C
	v_and_b32_e32 v12, v12, v224                               // 0000000068C8: 2619C10C
	v_mov_b32_dpp v15, v13 row_shl:8 row_mask:0xf bank_mask:0xf bound_ctrl:1// 0000000068CC: 7E1E02FA FF09080D
	v_and_b32_e32 v13, v13, v224                               // 0000000068D4: 261BC10D
	ds_write_b32 v254, v4 offset:8192                          // 0000000068D8: D81A2000 000004FE
	ds_write_b32 v254, v5 offset:9216                          // 0000000068E0: D81A2400 000005FE
	ds_write_b32 v254, v6 offset:10240                         // 0000000068E8: D81A2800 000006FE
	ds_write_b32 v254, v7 offset:11264                         // 0000000068F0: D81A2C00 000007FE
	ds_write_b32 v254, v8 offset:12288                         // 0000000068F8: D81A3000 000008FE
	ds_write_b32 v254, v9 offset:13312                         // 000000006900: D81A3400 000009FE
	ds_write_b32 v254, v10 offset:14336                        // 000000006908: D81A3800 00000AFE
	ds_write_b32 v254, v11 offset:15360                        // 000000006910: D81A3C00 00000BFE
	ds_write_b32 v254, v12 offset:16384                        // 000000006918: D81A4000 00000CFE
	ds_write_b32 v254, v13 offset:17408                        // 000000006920: D81A4400 00000DFE
	ds_write_b32 v254, v14 offset:18432                        // 000000006928: D81A4800 00000EFE
	ds_write_b32 v254, v15 offset:19456                        // 000000006930: D81A4C00 00000FFE
	v_rcp_f32_e32 v158, v188                                   // 000000006938: 7F3C45BC
	v_rcp_f32_e32 v160, v190                                   // 00000000693C: 7F4045BE
	v_rcp_f32_e32 v162, v192                                   // 000000006940: 7F4445C0
	v_mov_b32_e32 v159, v158                                   // 000000006944: 7F3E039E
	v_mov_b32_e32 v161, v160                                   // 000000006948: 7F4203A0
	v_mov_b32_e32 v163, v162                                   // 00000000694C: 7F4603A2
	v_pk_add_f32 v[124:125], v[124:125], v[100:101]            // 000000006950: D3B2407C 1802C97C
	v_pk_add_f32 v[126:127], v[126:127], v[102:103]            // 000000006958: D3B2407E 1802CD7E
	v_pk_add_f32 v[128:129], v[128:129], v[104:105]            // 000000006960: D3B24080 1802D180
	v_pk_add_f32 v[130:131], v[130:131], v[106:107]            // 000000006968: D3B24082 1802D582
	v_pk_add_f32 v[132:133], v[132:133], v[108:109]            // 000000006970: D3B24084 1802D984
	v_pk_add_f32 v[134:135], v[134:135], v[110:111]            // 000000006978: D3B24086 1802DD86
	v_pk_add_f32 v[136:137], v[136:137], v[112:113]            // 000000006980: D3B24088 1802E188
	v_pk_add_f32 v[138:139], v[138:139], v[114:115]            // 000000006988: D3B2408A 1802E58A
	v_pk_add_f32 v[140:141], v[140:141], v[116:117]            // 000000006990: D3B2408C 1802E98C
	v_pk_add_f32 v[142:143], v[142:143], v[118:119]            // 000000006998: D3B2408E 1802ED8E
	v_pk_add_f32 v[144:145], v[144:145], v[120:121]            // 0000000069A0: D3B24090 1802F190
	v_pk_add_f32 v[146:147], v[146:147], v[122:123]            // 0000000069A8: D3B24092 1802F592
	s_waitcnt lgkmcnt(0)                                       // 0000000069B0: BF8CC07F
	s_barrier                                                  // 0000000069B4: BF8A0000
	ds_read_b128 v[4:7], v255 offset:8192                      // 0000000069B8: D9FE2000 040000FF
	ds_read_b128 v[8:11], v255 offset:9216                     // 0000000069C0: D9FE2400 080000FF
	ds_read_b128 v[12:15], v255 offset:10240                   // 0000000069C8: D9FE2800 0C0000FF
	ds_read_b128 v[16:19], v255 offset:11264                   // 0000000069D0: D9FE2C00 100000FF
	ds_read_b128 v[20:23], v255 offset:12288                   // 0000000069D8: D9FE3000 140000FF
	ds_read_b128 v[24:27], v255 offset:13312                   // 0000000069E0: D9FE3400 180000FF
	ds_read_b128 v[28:31], v255 offset:14336                   // 0000000069E8: D9FE3800 1C0000FF
	ds_read_b128 v[32:35], v255 offset:15360                   // 0000000069F0: D9FE3C00 200000FF
	ds_read_b128 v[36:39], v255 offset:16384                   // 0000000069F8: D9FE4000 240000FF
	ds_read_b128 v[40:43], v255 offset:17408                   // 000000006A00: D9FE4400 280000FF
	ds_read_b128 v[44:47], v255 offset:18432                   // 000000006A08: D9FE4800 2C0000FF
	ds_read_b128 v[48:51], v255 offset:19456                   // 000000006A10: D9FE4C00 300000FF
	s_waitcnt vmcnt(10)                                        // 000000006A18: BF8C0F7A
	s_waitcnt lgkmcnt(11)                                      // 000000006A1C: BF8CCB7F
	v_mfma_f32_16x16x32_fp8_fp8 v[100:103], a[88:89], v[4:5], 0// 000000006A20: D3F30064 0A020958
	v_mfma_f32_16x16x32_fp8_fp8 v[104:107], a[104:105], v[4:5], 0// 000000006A28: D3F30068 0A020968
	v_mfma_f32_16x16x32_fp8_fp8 v[100:103], a[90:91], v[6:7], v[100:103]// 000000006A30: D3F30064 0D920D5A
	buffer_load_dwordx4 a[120:123], v234, s[16:19], 0 offen    // 000000006A38: E05C1000 808478EA
	v_mfma_f32_16x16x32_fp8_fp8 v[104:107], a[106:107], v[6:7], v[104:107]// 000000006A40: D3F30068 0DA20D6A
	s_waitcnt lgkmcnt(10)                                      // 000000006A48: BF8CCA7F
	v_mfma_f32_16x16x32_fp8_fp8 v[100:103], a[92:93], v[8:9], v[100:103]// 000000006A4C: D3F30064 0D92115C
	v_mfma_f32_16x16x32_fp8_fp8 v[104:107], a[108:109], v[8:9], v[104:107]// 000000006A54: D3F30068 0DA2116C
	v_mfma_f32_16x16x32_fp8_fp8 v[100:103], a[94:95], v[10:11], v[100:103]// 000000006A5C: D3F30064 0D92155E
	buffer_load_dwordx4 a[124:127], v235, s[16:19], 0 offen    // 000000006A64: E05C1000 80847CEB
	v_mfma_f32_16x16x32_fp8_fp8 v[104:107], a[110:111], v[10:11], v[104:107]// 000000006A6C: D3F30068 0DA2156E
	s_waitcnt lgkmcnt(9)                                       // 000000006A74: BF8CC97F
	v_mfma_f32_16x16x32_fp8_fp8 v[100:103], a[96:97], v[12:13], v[100:103]// 000000006A78: D3F30064 0D921960
	v_mfma_f32_16x16x32_fp8_fp8 v[104:107], a[112:113], v[12:13], v[104:107]// 000000006A80: D3F30068 0DA21970
	v_mfma_f32_16x16x32_fp8_fp8 v[100:103], a[98:99], v[14:15], v[100:103]// 000000006A88: D3F30064 0D921D62
	buffer_load_dwordx4 a[128:131], v236, s[16:19], 0 offen    // 000000006A90: E05C1000 808480EC
	v_mfma_f32_16x16x32_fp8_fp8 v[104:107], a[114:115], v[14:15], v[104:107]// 000000006A98: D3F30068 0DA21D72
	s_waitcnt lgkmcnt(8)                                       // 000000006AA0: BF8CC87F
	v_mfma_f32_16x16x32_fp8_fp8 v[100:103], a[100:101], v[16:17], v[100:103]// 000000006AA4: D3F30064 0D922164
	v_mfma_f32_16x16x32_fp8_fp8 v[104:107], a[116:117], v[16:17], v[104:107]// 000000006AAC: D3F30068 0DA22174
	v_mfma_f32_16x16x32_fp8_fp8 v[100:103], a[102:103], v[18:19], v[100:103]// 000000006AB4: D3F30064 0D922566
	buffer_load_dwordx4 a[132:135], v237, s[16:19], 0 offen    // 000000006ABC: E05C1000 808484ED
	v_mfma_f32_16x16x32_fp8_fp8 v[104:107], a[118:119], v[18:19], v[104:107]// 000000006AC4: D3F30068 0DA22576
	s_waitcnt lgkmcnt(7)                                       // 000000006ACC: BF8CC77F
	v_mfma_f32_16x16x32_fp8_fp8 v[108:111], a[88:89], v[20:21], 0// 000000006AD0: D3F3006C 0A022958
	v_mfma_f32_16x16x32_fp8_fp8 v[112:115], a[104:105], v[20:21], 0// 000000006AD8: D3F30070 0A022968
	v_mfma_f32_16x16x32_fp8_fp8 v[108:111], a[90:91], v[22:23], v[108:111]// 000000006AE0: D3F3006C 0DB22D5A
	buffer_load_dwordx4 a[136:139], v234, s[16:19], 0 offen offset:1024// 000000006AE8: E05C1400 808488EA
	v_mfma_f32_16x16x32_fp8_fp8 v[112:115], a[106:107], v[22:23], v[112:115]// 000000006AF0: D3F30070 0DC22D6A
	s_waitcnt lgkmcnt(6)                                       // 000000006AF8: BF8CC67F
	v_mfma_f32_16x16x32_fp8_fp8 v[108:111], a[92:93], v[24:25], v[108:111]// 000000006AFC: D3F3006C 0DB2315C
	v_mfma_f32_16x16x32_fp8_fp8 v[112:115], a[108:109], v[24:25], v[112:115]// 000000006B04: D3F30070 0DC2316C
	v_mfma_f32_16x16x32_fp8_fp8 v[108:111], a[94:95], v[26:27], v[108:111]// 000000006B0C: D3F3006C 0DB2355E
	buffer_load_dwordx4 a[140:143], v235, s[16:19], 0 offen offset:1024// 000000006B14: E05C1400 80848CEB
	v_mfma_f32_16x16x32_fp8_fp8 v[112:115], a[110:111], v[26:27], v[112:115]// 000000006B1C: D3F30070 0DC2356E
	s_waitcnt lgkmcnt(5)                                       // 000000006B24: BF8CC57F
	v_mfma_f32_16x16x32_fp8_fp8 v[108:111], a[96:97], v[28:29], v[108:111]// 000000006B28: D3F3006C 0DB23960
	v_mfma_f32_16x16x32_fp8_fp8 v[112:115], a[112:113], v[28:29], v[112:115]// 000000006B30: D3F30070 0DC23970
	v_mfma_f32_16x16x32_fp8_fp8 v[108:111], a[98:99], v[30:31], v[108:111]// 000000006B38: D3F3006C 0DB23D62
	buffer_load_dwordx4 a[144:147], v236, s[16:19], 0 offen offset:1024// 000000006B40: E05C1400 808490EC
	v_mfma_f32_16x16x32_fp8_fp8 v[112:115], a[114:115], v[30:31], v[112:115]// 000000006B48: D3F30070 0DC23D72
	s_waitcnt lgkmcnt(4)                                       // 000000006B50: BF8CC47F
	v_mfma_f32_16x16x32_fp8_fp8 v[108:111], a[100:101], v[32:33], v[108:111]// 000000006B54: D3F3006C 0DB24164
	v_mfma_f32_16x16x32_fp8_fp8 v[112:115], a[116:117], v[32:33], v[112:115]// 000000006B5C: D3F30070 0DC24174
	v_mfma_f32_16x16x32_fp8_fp8 v[108:111], a[102:103], v[34:35], v[108:111]// 000000006B64: D3F3006C 0DB24566
	buffer_load_dwordx4 a[148:151], v237, s[16:19], 0 offen offset:1024// 000000006B6C: E05C1400 808494ED
	v_mfma_f32_16x16x32_fp8_fp8 v[112:115], a[118:119], v[34:35], v[112:115]// 000000006B74: D3F30070 0DC24576
	s_waitcnt lgkmcnt(3)                                       // 000000006B7C: BF8CC37F
	v_mfma_f32_16x16x32_fp8_fp8 v[116:119], a[88:89], v[36:37], 0// 000000006B80: D3F30074 0A024958
	v_mfma_f32_16x16x32_fp8_fp8 v[120:123], a[104:105], v[36:37], 0// 000000006B88: D3F30078 0A024968
	v_mfma_f32_16x16x32_fp8_fp8 v[116:119], a[90:91], v[38:39], v[116:119]// 000000006B90: D3F30074 0DD24D5A
	v_mfma_f32_16x16x32_fp8_fp8 v[120:123], a[106:107], v[38:39], v[120:123]// 000000006B98: D3F30078 0DE24D6A
	s_waitcnt lgkmcnt(2)                                       // 000000006BA0: BF8CC27F
	v_mfma_f32_16x16x32_fp8_fp8 v[116:119], a[92:93], v[40:41], v[116:119]// 000000006BA4: D3F30074 0DD2515C
	v_mfma_f32_16x16x32_fp8_fp8 v[120:123], a[108:109], v[40:41], v[120:123]// 000000006BAC: D3F30078 0DE2516C
	v_mfma_f32_16x16x32_fp8_fp8 v[116:119], a[94:95], v[42:43], v[116:119]// 000000006BB4: D3F30074 0DD2555E
	v_mfma_f32_16x16x32_fp8_fp8 v[120:123], a[110:111], v[42:43], v[120:123]// 000000006BBC: D3F30078 0DE2556E
	s_waitcnt lgkmcnt(1)                                       // 000000006BC4: BF8CC17F
	v_mfma_f32_16x16x32_fp8_fp8 v[116:119], a[96:97], v[44:45], v[116:119]// 000000006BC8: D3F30074 0DD25960
	v_mfma_f32_16x16x32_fp8_fp8 v[120:123], a[112:113], v[44:45], v[120:123]// 000000006BD0: D3F30078 0DE25970
	v_mfma_f32_16x16x32_fp8_fp8 v[116:119], a[98:99], v[46:47], v[116:119]// 000000006BD8: D3F30074 0DD25D62
	v_mfma_f32_16x16x32_fp8_fp8 v[120:123], a[114:115], v[46:47], v[120:123]// 000000006BE0: D3F30078 0DE25D72
	s_waitcnt lgkmcnt(0)                                       // 000000006BE8: BF8CC07F
	v_mfma_f32_16x16x32_fp8_fp8 v[116:119], a[100:101], v[48:49], v[116:119]// 000000006BEC: D3F30074 0DD26164
	v_mfma_f32_16x16x32_fp8_fp8 v[120:123], a[116:117], v[48:49], v[120:123]// 000000006BF4: D3F30078 0DE26174
	v_mfma_f32_16x16x32_fp8_fp8 v[116:119], a[102:103], v[50:51], v[116:119]// 000000006BFC: D3F30074 0DD26566
	v_mfma_f32_16x16x32_fp8_fp8 v[120:123], a[118:119], v[50:51], v[120:123]// 000000006C04: D3F30078 0DE26576
	s_addk_i32 s64, 0x100                                      // 000000006C0C: B7400100
	s_cmp_lt_i32 s64, s63                                      // 000000006C10: BF043F40
	s_cbranch_scc0 label_3CA1                                  // 000000006C14: BF842B9B
	s_waitcnt vmcnt(10)                                        // 000000006C18: BF8C0F7A
	v_mfma_f32_16x16x32_fp8_fp8 v[4:7], a[56:57], a[0:1], 0    // 000000006C1C: D3F30004 1A020138
	s_add_u32 s12, s86, s69                                    // 000000006C24: 800C4556
	s_addc_u32 s13, s87, 0                                     // 000000006C28: 820D8057
	v_mfma_f32_16x16x32_fp8_fp8 v[4:7], a[58:59], a[2:3], v[4:7]// 000000006C2C: D3F30004 1C12053A
	s_add_u32 s16, s88, s70                                    // 000000006C34: 80104658
	s_addc_u32 s17, s89, 0                                     // 000000006C38: 82118059
	v_mfma_f32_16x16x32_fp8_fp8 v[4:7], a[60:61], a[4:5], v[4:7]// 000000006C3C: D3F30004 1C12093C
	buffer_load_dwordx4 a[24:27], v232, s[12:15], 0 offen      // 000000006C44: E05C1000 808318E8
	v_mfma_f32_16x16x32_fp8_fp8 v[4:7], a[62:63], a[6:7], v[4:7]// 000000006C4C: D3F30004 1C120D3E
	s_add_u32 s20, s90, s71                                    // 000000006C54: 8014475A
	s_addc_u32 s21, s91, 0                                     // 000000006C58: 8215805B
	v_mfma_f32_16x16x32_fp8_fp8 v[8:11], a[64:65], a[0:1], 0   // 000000006C5C: D3F30008 1A020140
	s_add_u32 s24, s92, s71                                    // 000000006C64: 8018475C
	s_addc_u32 s25, s93, 0                                     // 000000006C68: 8219805D
	v_mfma_f32_16x16x32_fp8_fp8 v[8:11], a[66:67], a[2:3], v[8:11]// 000000006C6C: D3F30008 1C220542
	s_add_u32 s69, s69, 0x1000                                 // 000000006C74: 8045FF45 00001000
	s_add_u32 s70, s70, 0x8000                                 // 000000006C7C: 8046FF46 00008000
	v_mfma_f32_16x16x32_fp8_fp8 v[8:11], a[68:69], a[4:5], v[8:11]// 000000006C84: D3F30008 1C220944
	buffer_load_dwordx4 a[28:31], v233, s[12:15], 0 offen      // 000000006C8C: E05C1000 80831CE9
	v_mfma_f32_16x16x32_fp8_fp8 v[8:11], a[70:71], a[6:7], v[8:11]// 000000006C94: D3F30008 1C220D46
	s_add_u32 s71, s71, 0x400                                  // 000000006C9C: 8047FF47 00000400
	v_mfma_f32_16x16x32_fp8_fp8 v[12:15], a[72:73], a[0:1], 0  // 000000006CA4: D3F3000C 1A020148
	v_mfma_f32_16x16x32_fp8_fp8 v[12:15], a[74:75], a[2:3], v[12:15]// 000000006CAC: D3F3000C 1C32054A
	v_mfma_f32_16x16x32_fp8_fp8 v[12:15], a[76:77], a[4:5], v[12:15]// 000000006CB4: D3F3000C 1C32094C
	buffer_load_dwordx4 a[32:35], v232, s[12:15], 0 offen offset:1024// 000000006CBC: E05C1400 808320E8
	v_mfma_f32_16x16x32_fp8_fp8 v[12:15], a[78:79], a[6:7], v[12:15]// 000000006CC4: D3F3000C 1C320D4E
	v_mfma_f32_16x16x32_fp8_fp8 v[16:19], a[80:81], a[0:1], 0  // 000000006CCC: D3F30010 1A020150
	v_mfma_f32_16x16x32_fp8_fp8 v[16:19], a[82:83], a[2:3], v[16:19]// 000000006CD4: D3F30010 1C420552
	v_mfma_f32_16x16x32_fp8_fp8 v[16:19], a[84:85], a[4:5], v[16:19]// 000000006CDC: D3F30010 1C420954
	buffer_load_dwordx4 a[36:39], v233, s[12:15], 0 offen offset:1024// 000000006CE4: E05C1400 808324E9
	v_mfma_f32_16x16x32_fp8_fp8 v[16:19], a[86:87], a[6:7], v[16:19]// 000000006CEC: D3F30010 1C420D56
	v_mfma_f32_16x16x32_fp8_fp8 v[20:23], a[56:57], a[8:9], 0  // 000000006CF4: D3F30014 1A021138
	v_mfma_f32_16x16x32_fp8_fp8 v[20:23], a[58:59], a[10:11], v[20:23]// 000000006CFC: D3F30014 1C52153A
	v_mfma_f32_16x16x32_fp8_fp8 v[20:23], a[60:61], a[12:13], v[20:23]// 000000006D04: D3F30014 1C52193C
	buffer_load_dwordx4 a[40:43], v232, s[12:15], 0 offen offset:2048// 000000006D0C: E05C1800 808328E8
	v_mfma_f32_16x16x32_fp8_fp8 v[20:23], a[62:63], a[14:15], v[20:23]// 000000006D14: D3F30014 1C521D3E
	v_mfma_f32_16x16x32_fp8_fp8 v[24:27], a[64:65], a[8:9], 0  // 000000006D1C: D3F30018 1A021140
	v_mfma_f32_16x16x32_fp8_fp8 v[24:27], a[66:67], a[10:11], v[24:27]// 000000006D24: D3F30018 1C621542
	v_mfma_f32_16x16x32_fp8_fp8 v[24:27], a[68:69], a[12:13], v[24:27]// 000000006D2C: D3F30018 1C621944
	buffer_load_dwordx4 a[44:47], v233, s[12:15], 0 offen offset:2048// 000000006D34: E05C1800 80832CE9
	v_mfma_f32_16x16x32_fp8_fp8 v[24:27], a[70:71], a[14:15], v[24:27]// 000000006D3C: D3F30018 1C621D46
	v_mfma_f32_16x16x32_fp8_fp8 v[28:31], a[72:73], a[8:9], 0  // 000000006D44: D3F3001C 1A021148
	v_mfma_f32_16x16x32_fp8_fp8 v[28:31], a[74:75], a[10:11], v[28:31]// 000000006D4C: D3F3001C 1C72154A
	v_mfma_f32_16x16x32_fp8_fp8 v[28:31], a[76:77], a[12:13], v[28:31]// 000000006D54: D3F3001C 1C72194C
	buffer_load_dwordx4 a[48:51], v232, s[12:15], 0 offen offset:3072// 000000006D5C: E05C1C00 808330E8
	v_mfma_f32_16x16x32_fp8_fp8 v[28:31], a[78:79], a[14:15], v[28:31]// 000000006D64: D3F3001C 1C721D4E
	v_mfma_f32_16x16x32_fp8_fp8 v[32:35], a[80:81], a[8:9], 0  // 000000006D6C: D3F30020 1A021150
	v_mfma_f32_16x16x32_fp8_fp8 v[32:35], a[82:83], a[10:11], v[32:35]// 000000006D74: D3F30020 1C821552
	v_mfma_f32_16x16x32_fp8_fp8 v[32:35], a[84:85], a[12:13], v[32:35]// 000000006D7C: D3F30020 1C821954
	buffer_load_dwordx4 a[52:55], v233, s[12:15], 0 offen offset:3072// 000000006D84: E05C1C00 808334E9
	v_mfma_f32_16x16x32_fp8_fp8 v[32:35], a[86:87], a[14:15], v[32:35]// 000000006D8C: D3F30020 1C821D56
	v_mfma_f32_16x16x32_fp8_fp8 v[36:39], a[56:57], a[16:17], 0// 000000006D94: D3F30024 1A022138
	v_mfma_f32_16x16x32_fp8_fp8 v[36:39], a[58:59], a[18:19], v[36:39]// 000000006D9C: D3F30024 1C92253A
	v_mfma_f32_16x16x32_fp8_fp8 v[36:39], a[60:61], a[20:21], v[36:39]// 000000006DA4: D3F30024 1C92293C
	v_mfma_f32_16x16x32_fp8_fp8 v[36:39], a[62:63], a[22:23], v[36:39]// 000000006DAC: D3F30024 1C922D3E
	v_mfma_f32_16x16x32_fp8_fp8 v[40:43], a[64:65], a[16:17], 0// 000000006DB4: D3F30028 1A022140
	v_mfma_f32_16x16x32_fp8_fp8 v[40:43], a[66:67], a[18:19], v[40:43]// 000000006DBC: D3F30028 1CA22542
	v_mfma_f32_16x16x32_fp8_fp8 v[40:43], a[68:69], a[20:21], v[40:43]// 000000006DC4: D3F30028 1CA22944
	v_mfma_f32_16x16x32_fp8_fp8 v[40:43], a[70:71], a[22:23], v[40:43]// 000000006DCC: D3F30028 1CA22D46
	v_mfma_f32_16x16x32_fp8_fp8 v[44:47], a[72:73], a[16:17], 0// 000000006DD4: D3F3002C 1A022148
	v_mfma_f32_16x16x32_fp8_fp8 v[44:47], a[74:75], a[18:19], v[44:47]// 000000006DDC: D3F3002C 1CB2254A
	v_mfma_f32_16x16x32_fp8_fp8 v[44:47], a[76:77], a[20:21], v[44:47]// 000000006DE4: D3F3002C 1CB2294C
	v_mfma_f32_16x16x32_fp8_fp8 v[44:47], a[78:79], a[22:23], v[44:47]// 000000006DEC: D3F3002C 1CB22D4E
	v_mfma_f32_16x16x32_fp8_fp8 v[48:51], a[80:81], a[16:17], 0// 000000006DF4: D3F30030 1A022150
	v_mfma_f32_16x16x32_fp8_fp8 v[48:51], a[82:83], a[18:19], v[48:51]// 000000006DFC: D3F30030 1CC22552
	v_mfma_f32_16x16x32_fp8_fp8 v[48:51], a[84:85], a[20:21], v[48:51]// 000000006E04: D3F30030 1CC22954
	v_mfma_f32_16x16x32_fp8_fp8 v[48:51], a[86:87], a[22:23], v[48:51]// 000000006E0C: D3F30030 1CC22D56
	s_waitcnt vmcnt(16)                                        // 000000006E14: BF8C4F70
	v_or_b32_dpp v36, v44, v36 row_shr:8 row_mask:0xf bank_mask:0xf bound_ctrl:1// 000000006E18: 284848FA FF09182C
	v_or_b32_dpp v37, v45, v37 row_shr:8 row_mask:0xf bank_mask:0xf bound_ctrl:1// 000000006E20: 284A4AFA FF09182D
	v_or_b32_dpp v38, v46, v38 row_shr:8 row_mask:0xf bank_mask:0xf bound_ctrl:1// 000000006E28: 284C4CFA FF09182E
	v_or_b32_dpp v39, v47, v39 row_shr:8 row_mask:0xf bank_mask:0xf bound_ctrl:1// 000000006E30: 284E4EFA FF09182F
	v_or_b32_dpp v40, v48, v40 row_shr:8 row_mask:0xf bank_mask:0xf bound_ctrl:1// 000000006E38: 285050FA FF091830
	v_or_b32_dpp v41, v49, v41 row_shr:8 row_mask:0xf bank_mask:0xf bound_ctrl:1// 000000006E40: 285252FA FF091831
	v_or_b32_dpp v42, v50, v42 row_shr:8 row_mask:0xf bank_mask:0xf bound_ctrl:1// 000000006E48: 285454FA FF091832
	v_or_b32_dpp v43, v51, v43 row_shr:8 row_mask:0xf bank_mask:0xf bound_ctrl:1// 000000006E50: 285656FA FF091833
	v_mov_b32_dpp v168, v155 row_shr:4 row_mask:0xf bank_mask:0xf// 000000006E58: 7F5002FA FF01149B
	v_mov_b32_dpp v169, v155 row_shl:4 row_mask:0xf bank_mask:0xf// 000000006E60: 7F5202FA FF01049B
	v_cndmask_b32_e64 v164, v155, v168, s[2:3]                 // 000000006E68: D10000A4 000B519B
	v_cndmask_b32_e64 v165, v169, v155, s[2:3]                 // 000000006E70: D10000A5 000B37A9
	v_mov_b32_dpp v168, v157 row_shr:4 row_mask:0xf bank_mask:0xf// 000000006E78: 7F5002FA FF01149D
	v_mov_b32_dpp v169, v157 row_shl:4 row_mask:0xf bank_mask:0xf// 000000006E80: 7F5202FA FF01049D
	v_cndmask_b32_e64 v166, v157, v168, s[2:3]                 // 000000006E88: D10000A6 000B519D
	v_cndmask_b32_e64 v167, v169, v157, s[2:3]                 // 000000006E90: D10000A7 000B3BA9
	v_pk_mul_f32 v[4:5], v[148:149], v[4:5]                    // 000000006E98: D3B14004 18020994
	v_pk_mul_f32 v[6:7], v[148:149], v[6:7]                    // 000000006EA0: D3B14006 18020D94
	v_pk_mul_f32 v[8:9], v[148:149], v[8:9]                    // 000000006EA8: D3B14008 18021194
	v_pk_mul_f32 v[10:11], v[148:149], v[10:11]                // 000000006EB0: D3B1400A 18021594
	v_pk_mul_f32 v[12:13], v[148:149], v[12:13]                // 000000006EB8: D3B1400C 18021994
	v_pk_mul_f32 v[14:15], v[148:149], v[14:15]                // 000000006EC0: D3B1400E 18021D94
	v_pk_mul_f32 v[16:17], v[148:149], v[16:17]                // 000000006EC8: D3B14010 18022194
	v_pk_mul_f32 v[18:19], v[148:149], v[18:19]                // 000000006ED0: D3B14012 18022594
	v_mul_f32_dpp v4, v155, v4 row_newbcast:0 row_mask:0xf bank_mask:0xf// 000000006ED8: 0A0808FA FF01509B
	v_mul_f32_dpp v5, v155, v5 row_newbcast:1 row_mask:0xf bank_mask:0xf// 000000006EE0: 0A0A0AFA FF01519B
	v_mul_f32_dpp v6, v155, v6 row_newbcast:2 row_mask:0xf bank_mask:0xf// 000000006EE8: 0A0C0CFA FF01529B
	v_mul_f32_dpp v7, v155, v7 row_newbcast:3 row_mask:0xf bank_mask:0xf// 000000006EF0: 0A0E0EFA FF01539B
	v_mul_f32_dpp v8, v155, v8 row_newbcast:4 row_mask:0xf bank_mask:0xf// 000000006EF8: 0A1010FA FF01549B
	v_mul_f32_dpp v9, v155, v9 row_newbcast:5 row_mask:0xf bank_mask:0xf// 000000006F00: 0A1212FA FF01559B
	v_mul_f32_dpp v10, v155, v10 row_newbcast:6 row_mask:0xf bank_mask:0xf// 000000006F08: 0A1414FA FF01569B
	v_mul_f32_dpp v11, v155, v11 row_newbcast:7 row_mask:0xf bank_mask:0xf// 000000006F10: 0A1616FA FF01579B
	v_mul_f32_dpp v12, v155, v12 row_newbcast:8 row_mask:0xf bank_mask:0xf// 000000006F18: 0A1818FA FF01589B
	v_mul_f32_dpp v13, v155, v13 row_newbcast:9 row_mask:0xf bank_mask:0xf// 000000006F20: 0A1A1AFA FF01599B
	v_mul_f32_dpp v14, v155, v14 row_newbcast:10 row_mask:0xf bank_mask:0xf// 000000006F28: 0A1C1CFA FF015A9B
	v_mul_f32_dpp v15, v155, v15 row_newbcast:11 row_mask:0xf bank_mask:0xf// 000000006F30: 0A1E1EFA FF015B9B
	v_mul_f32_dpp v16, v155, v16 row_newbcast:12 row_mask:0xf bank_mask:0xf// 000000006F38: 0A2020FA FF015C9B
	v_mul_f32_dpp v17, v155, v17 row_newbcast:13 row_mask:0xf bank_mask:0xf// 000000006F40: 0A2222FA FF015D9B
	v_mul_f32_dpp v18, v155, v18 row_newbcast:14 row_mask:0xf bank_mask:0xf// 000000006F48: 0A2424FA FF015E9B
	v_mul_f32_dpp v19, v155, v19 row_newbcast:15 row_mask:0xf bank_mask:0xf// 000000006F50: 0A2626FA FF015F9B
	v_pk_mul_f32 v[20:21], v[150:151], v[20:21]                // 000000006F58: D3B14014 18022996
	v_pk_mul_f32 v[22:23], v[150:151], v[22:23]                // 000000006F60: D3B14016 18022D96
	v_pk_mul_f32 v[24:25], v[150:151], v[24:25]                // 000000006F68: D3B14018 18023196
	v_pk_mul_f32 v[26:27], v[150:151], v[26:27]                // 000000006F70: D3B1401A 18023596
	v_pk_mul_f32 v[28:29], v[150:151], v[28:29]                // 000000006F78: D3B1401C 18023996
	v_pk_mul_f32 v[30:31], v[150:151], v[30:31]                // 000000006F80: D3B1401E 18023D96
	v_pk_mul_f32 v[32:33], v[150:151], v[32:33]                // 000000006F88: D3B14020 18024196
	v_pk_mul_f32 v[34:35], v[150:151], v[34:35]                // 000000006F90: D3B14022 18024596
	v_mul_f32_dpp v20, v155, v20 row_newbcast:0 row_mask:0xf bank_mask:0xf// 000000006F98: 0A2828FA FF01509B
	v_mul_f32_dpp v21, v155, v21 row_newbcast:1 row_mask:0xf bank_mask:0xf// 000000006FA0: 0A2A2AFA FF01519B
	v_mul_f32_dpp v22, v155, v22 row_newbcast:2 row_mask:0xf bank_mask:0xf// 000000006FA8: 0A2C2CFA FF01529B
	v_mul_f32_dpp v23, v155, v23 row_newbcast:3 row_mask:0xf bank_mask:0xf// 000000006FB0: 0A2E2EFA FF01539B
	v_mul_f32_dpp v24, v155, v24 row_newbcast:4 row_mask:0xf bank_mask:0xf// 000000006FB8: 0A3030FA FF01549B
	v_mul_f32_dpp v25, v155, v25 row_newbcast:5 row_mask:0xf bank_mask:0xf// 000000006FC0: 0A3232FA FF01559B
	v_mul_f32_dpp v26, v155, v26 row_newbcast:6 row_mask:0xf bank_mask:0xf// 000000006FC8: 0A3434FA FF01569B
	v_mul_f32_dpp v27, v155, v27 row_newbcast:7 row_mask:0xf bank_mask:0xf// 000000006FD0: 0A3636FA FF01579B
	v_mul_f32_dpp v28, v155, v28 row_newbcast:8 row_mask:0xf bank_mask:0xf// 000000006FD8: 0A3838FA FF01589B
	v_mul_f32_dpp v29, v155, v29 row_newbcast:9 row_mask:0xf bank_mask:0xf// 000000006FE0: 0A3A3AFA FF01599B
	v_mul_f32_dpp v30, v155, v30 row_newbcast:10 row_mask:0xf bank_mask:0xf// 000000006FE8: 0A3C3CFA FF015A9B
	v_mul_f32_dpp v31, v155, v31 row_newbcast:11 row_mask:0xf bank_mask:0xf// 000000006FF0: 0A3E3EFA FF015B9B
	v_mul_f32_dpp v32, v155, v32 row_newbcast:12 row_mask:0xf bank_mask:0xf// 000000006FF8: 0A4040FA FF015C9B
	v_mul_f32_dpp v33, v155, v33 row_newbcast:13 row_mask:0xf bank_mask:0xf// 000000007000: 0A4242FA FF015D9B
	v_mul_f32_dpp v34, v155, v34 row_newbcast:14 row_mask:0xf bank_mask:0xf// 000000007008: 0A4444FA FF015E9B
	v_mul_f32_dpp v35, v155, v35 row_newbcast:15 row_mask:0xf bank_mask:0xf// 000000007010: 0A4646FA FF015F9B
	v_pk_mul_f32 v[36:37], v[152:153], v[36:37]                // 000000007018: D3B14024 18024998
	v_pk_mul_f32 v[38:39], v[152:153], v[38:39]                // 000000007020: D3B14026 18024D98
	v_pk_mul_f32 v[40:41], v[152:153], v[40:41]                // 000000007028: D3B14028 18025198
	v_pk_mul_f32 v[42:43], v[152:153], v[42:43]                // 000000007030: D3B1402A 18025598
	v_mul_f32_dpp v36, v164, v36 quad_perm:[0,0,0,0] row_mask:0xf bank_mask:0xf// 000000007038: 0A4848FA FF0000A4
	v_mul_f32_dpp v37, v164, v37 quad_perm:[1,1,1,1] row_mask:0xf bank_mask:0xf// 000000007040: 0A4A4AFA FF0055A4
	v_mul_f32_dpp v38, v164, v38 quad_perm:[2,2,2,2] row_mask:0xf bank_mask:0xf// 000000007048: 0A4C4CFA FF00AAA4
	v_mul_f32_dpp v39, v164, v39 quad_perm:[3,3,3,3] row_mask:0xf bank_mask:0xf// 000000007050: 0A4E4EFA FF00FFA4
	v_mul_f32_dpp v40, v165, v40 quad_perm:[0,0,0,0] row_mask:0xf bank_mask:0xf// 000000007058: 0A5050FA FF0000A5
	v_mul_f32_dpp v41, v165, v41 quad_perm:[1,1,1,1] row_mask:0xf bank_mask:0xf// 000000007060: 0A5252FA FF0055A5
	v_mul_f32_dpp v42, v165, v42 quad_perm:[2,2,2,2] row_mask:0xf bank_mask:0xf// 000000007068: 0A5454FA FF00AAA5
	v_mul_f32_dpp v43, v165, v43 quad_perm:[3,3,3,3] row_mask:0xf bank_mask:0xf// 000000007070: 0A5656FA FF00FFA5
	v_mov_b32_e32 v190, v36                                    // 000000007078: 7F7C0324
	v_max3_f32 v190, v36, v37, v190                            // 00000000707C: D1D300BE 06FA4B24
	v_max3_f32 v190, v38, v39, v190                            // 000000007084: D1D300BE 06FA4F26
	v_max3_f32 v190, v40, v41, v190                            // 00000000708C: D1D300BE 06FA5328
	v_max3_f32 v190, v42, v43, v190                            // 000000007094: D1D300BE 06FA572A
	v_mov_b32_e32 v189, v20                                    // 00000000709C: 7F7A0314
	v_max3_f32 v189, v20, v21, v189                            // 0000000070A0: D1D300BD 06F62B14
	v_max3_f32 v189, v22, v23, v189                            // 0000000070A8: D1D300BD 06F62F16
	v_max3_f32 v189, v24, v25, v189                            // 0000000070B0: D1D300BD 06F63318
	v_max3_f32 v189, v26, v27, v189                            // 0000000070B8: D1D300BD 06F6371A
	v_max3_f32 v189, v28, v29, v189                            // 0000000070C0: D1D300BD 06F63B1C
	v_max3_f32 v189, v30, v31, v189                            // 0000000070C8: D1D300BD 06F63F1E
	v_max3_f32 v189, v32, v33, v189                            // 0000000070D0: D1D300BD 06F64320
	v_max3_f32 v189, v34, v35, v189                            // 0000000070D8: D1D300BD 06F64722
	v_mov_b32_e32 v188, v4                                     // 0000000070E0: 7F780304
	v_max3_f32 v188, v4, v5, v188                              // 0000000070E4: D1D300BC 06F20B04
	v_max3_f32 v188, v6, v7, v188                              // 0000000070EC: D1D300BC 06F20F06
	v_max3_f32 v188, v8, v9, v188                              // 0000000070F4: D1D300BC 06F21308
	v_max3_f32 v188, v10, v11, v188                            // 0000000070FC: D1D300BC 06F2170A
	v_max3_f32 v188, v12, v13, v188                            // 000000007104: D1D300BC 06F21B0C
	v_max3_f32 v188, v14, v15, v188                            // 00000000710C: D1D300BC 06F21F0E
	v_max3_f32 v188, v16, v17, v188                            // 000000007114: D1D300BC 06F22310
	v_max3_f32 v188, v18, v19, v188                            // 00000000711C: D1D300BC 06F22712
	v_max_f32_dpp v190, v190, v190 row_ror:8 row_mask:0xf bank_mask:0xf// 000000007124: 177D7CFA FF0128BE
	ds_bpermute_b32 v172, v212, v188                           // 00000000712C: D87E0000 AC00BCD4
	ds_bpermute_b32 v173, v213, v188                           // 000000007134: D87E0000 AD00BCD5
	ds_bpermute_b32 v174, v214, v188                           // 00000000713C: D87E0000 AE00BCD6
	ds_bpermute_b32 v175, v212, v189                           // 000000007144: D87E0000 AF00BDD4
	ds_bpermute_b32 v176, v213, v189                           // 00000000714C: D87E0000 B000BDD5
	ds_bpermute_b32 v177, v214, v189                           // 000000007154: D87E0000 B100BDD6
	ds_bpermute_b32 v178, v212, v190                           // 00000000715C: D87E0000 B200BED4
	ds_bpermute_b32 v179, v213, v190                           // 000000007164: D87E0000 B300BED5
	ds_bpermute_b32 v180, v214, v190                           // 00000000716C: D87E0000 B400BED6
	v_pk_mul_f32 v[124:125], v[200:201], v[124:125]            // 000000007174: D3B1407C 1802F9C8
	v_pk_mul_f32 v[126:127], v[200:201], v[126:127]            // 00000000717C: D3B1407E 1802FDC8
	v_pk_mul_f32 v[128:129], v[200:201], v[128:129]            // 000000007184: D3B14080 180301C8
	v_pk_mul_f32 v[130:131], v[200:201], v[130:131]            // 00000000718C: D3B14082 180305C8
	v_pk_mul_f32 v[132:133], v[202:203], v[132:133]            // 000000007194: D3B14084 180309CA
	v_pk_mul_f32 v[134:135], v[202:203], v[134:135]            // 00000000719C: D3B14086 18030DCA
	v_pk_mul_f32 v[136:137], v[202:203], v[136:137]            // 0000000071A4: D3B14088 180311CA
	v_pk_mul_f32 v[138:139], v[202:203], v[138:139]            // 0000000071AC: D3B1408A 180315CA
	v_pk_mul_f32 v[140:141], v[204:205], v[140:141]            // 0000000071B4: D3B1408C 180319CC
	v_pk_mul_f32 v[142:143], v[204:205], v[142:143]            // 0000000071BC: D3B1408E 18031DCC
	v_pk_mul_f32 v[144:145], v[204:205], v[144:145]            // 0000000071C4: D3B14090 180321CC
	v_pk_mul_f32 v[146:147], v[204:205], v[146:147]            // 0000000071CC: D3B14092 180325CC
	s_waitcnt lgkmcnt(6)                                       // 0000000071D4: BF8CC67F
	v_max3_f32 v188, v172, v173, v188                          // 0000000071D8: D1D300BC 06F35BAC
	v_max_f32_e32 v188, v174, v188                             // 0000000071E0: 177979AE
	s_waitcnt lgkmcnt(3)                                       // 0000000071E4: BF8CC37F
	v_max3_f32 v189, v175, v176, v189                          // 0000000071E8: D1D300BD 06F761AF
	v_max_f32_e32 v189, v177, v189                             // 0000000071F0: 177B7BB1
	s_waitcnt lgkmcnt(0)                                       // 0000000071F4: BF8CC07F
	v_max3_f32 v190, v178, v179, v190                          // 0000000071F8: D1D300BE 06FB67B2
	v_max_f32_e32 v190, v180, v190                             // 000000007200: 177D7DB4
	ds_write_b128 v252, v[188:191]                             // 000000007204: D9BE0000 0000BCFC
	s_waitcnt lgkmcnt(0)                                       // 00000000720C: BF8CC07F
	s_barrier                                                  // 000000007210: BF8A0000
	ds_read_b128 v[172:175], v253                              // 000000007214: D9FE0000 AC0000FD
	ds_read_b128 v[176:179], v253 offset:256                   // 00000000721C: D9FE0100 B00000FD
	ds_read_b128 v[180:183], v253 offset:512                   // 000000007224: D9FE0200 B40000FD
	ds_read_b128 v[184:187], v253 offset:768                   // 00000000722C: D9FE0300 B80000FD
	v_pk_mul_f32 v[100:101], v[158:159], v[100:101]            // 000000007234: D3B14064 1802C99E
	v_pk_mul_f32 v[102:103], v[158:159], v[102:103]            // 00000000723C: D3B14066 1802CD9E
	v_pk_mul_f32 v[104:105], v[158:159], v[104:105]            // 000000007244: D3B14068 1802D19E
	v_pk_mul_f32 v[106:107], v[158:159], v[106:107]            // 00000000724C: D3B1406A 1802D59E
	v_pk_mul_f32 v[108:109], v[160:161], v[108:109]            // 000000007254: D3B1406C 1802D9A0
	v_pk_mul_f32 v[110:111], v[160:161], v[110:111]            // 00000000725C: D3B1406E 1802DDA0
	v_pk_mul_f32 v[112:113], v[160:161], v[112:113]            // 000000007264: D3B14070 1802E1A0
	v_pk_mul_f32 v[114:115], v[160:161], v[114:115]            // 00000000726C: D3B14072 1802E5A0
	v_pk_mul_f32 v[116:117], v[162:163], v[116:117]            // 000000007274: D3B14074 1802E9A2
	v_pk_mul_f32 v[118:119], v[162:163], v[118:119]            // 00000000727C: D3B14076 1802EDA2
	v_pk_mul_f32 v[120:121], v[162:163], v[120:121]            // 000000007284: D3B14078 1802F1A2
	v_pk_mul_f32 v[122:123], v[162:163], v[122:123]            // 00000000728C: D3B1407A 1802F5A2
	s_waitcnt lgkmcnt(0)                                       // 000000007294: BF8CC07F
	v_max3_f32 v188, v172, v176, v188                          // 000000007298: D1D300BC 06F361AC
	v_max3_f32 v189, v173, v177, v189                          // 0000000072A0: D1D300BD 06F763AD
	v_max3_f32 v190, v174, v178, v190                          // 0000000072A8: D1D300BE 06FB65AE
	v_max3_f32 v188, v180, v184, v188                          // 0000000072B0: D1D300BC 06F371B4
	v_max3_f32 v189, v181, v185, v189                          // 0000000072B8: D1D300BD 06F773B5
	v_max3_f32 v190, v182, v186, v190                          // 0000000072C0: D1D300BE 06FB75B6
	v_max_f32_e32 v197, v188, v194                             // 0000000072C8: 178B85BC
	v_mul_f32_e64 v168, -s46, v197                             // 0000000072CC: D10500A8 20038A2E
	v_mov_b32_e32 v169, v168                                   // 0000000072D4: 7F5203A8
	v_pk_fma_f32 v[4:5], v[4:5], s[46:47], v[168:169]          // 0000000072D8: D3B04004 1EA05D04
	v_pk_fma_f32 v[6:7], v[6:7], s[46:47], v[168:169]          // 0000000072E0: D3B04006 1EA05D06
	v_exp_f32_e32 v4, v4                                       // 0000000072E8: 7E084104
	v_exp_f32_e32 v5, v5                                       // 0000000072EC: 7E0A4105
	v_exp_f32_e32 v6, v6                                       // 0000000072F0: 7E0C4106
	v_exp_f32_e32 v7, v7                                       // 0000000072F4: 7E0E4107
	v_pk_fma_f32 v[8:9], v[8:9], s[46:47], v[168:169]          // 0000000072F8: D3B04008 1EA05D08
	v_pk_fma_f32 v[10:11], v[10:11], s[46:47], v[168:169]      // 000000007300: D3B0400A 1EA05D0A
	v_exp_f32_e32 v8, v8                                       // 000000007308: 7E104108
	v_exp_f32_e32 v9, v9                                       // 00000000730C: 7E124109
	v_exp_f32_e32 v10, v10                                     // 000000007310: 7E14410A
	v_exp_f32_e32 v11, v11                                     // 000000007314: 7E16410B
	v_pk_fma_f32 v[12:13], v[12:13], s[46:47], v[168:169]      // 000000007318: D3B0400C 1EA05D0C
	v_pk_fma_f32 v[14:15], v[14:15], s[46:47], v[168:169]      // 000000007320: D3B0400E 1EA05D0E
	v_exp_f32_e32 v12, v12                                     // 000000007328: 7E18410C
	v_exp_f32_e32 v13, v13                                     // 00000000732C: 7E1A410D
	v_exp_f32_e32 v14, v14                                     // 000000007330: 7E1C410E
	v_exp_f32_e32 v15, v15                                     // 000000007334: 7E1E410F
	v_pk_fma_f32 v[16:17], v[16:17], s[46:47], v[168:169]      // 000000007338: D3B04010 1EA05D10
	v_pk_fma_f32 v[18:19], v[18:19], s[46:47], v[168:169]      // 000000007340: D3B04012 1EA05D12
	v_exp_f32_e32 v16, v16                                     // 000000007348: 7E204110
	v_exp_f32_e32 v17, v17                                     // 00000000734C: 7E224111
	v_exp_f32_e32 v18, v18                                     // 000000007350: 7E244112
	v_exp_f32_e32 v19, v19                                     // 000000007354: 7E264113
	v_max_f32_e32 v198, v189, v195                             // 000000007358: 178D87BD
	v_mul_f32_e64 v168, -s46, v198                             // 00000000735C: D10500A8 20038C2E
	v_mov_b32_e32 v169, v168                                   // 000000007364: 7F5203A8
	v_pk_fma_f32 v[20:21], v[20:21], s[46:47], v[168:169]      // 000000007368: D3B04014 1EA05D14
	v_pk_fma_f32 v[22:23], v[22:23], s[46:47], v[168:169]      // 000000007370: D3B04016 1EA05D16
	v_exp_f32_e32 v20, v20                                     // 000000007378: 7E284114
	v_exp_f32_e32 v21, v21                                     // 00000000737C: 7E2A4115
	v_exp_f32_e32 v22, v22                                     // 000000007380: 7E2C4116
	v_exp_f32_e32 v23, v23                                     // 000000007384: 7E2E4117
	v_pk_fma_f32 v[24:25], v[24:25], s[46:47], v[168:169]      // 000000007388: D3B04018 1EA05D18
	v_pk_fma_f32 v[26:27], v[26:27], s[46:47], v[168:169]      // 000000007390: D3B0401A 1EA05D1A
	v_exp_f32_e32 v24, v24                                     // 000000007398: 7E304118
	v_exp_f32_e32 v25, v25                                     // 00000000739C: 7E324119
	v_exp_f32_e32 v26, v26                                     // 0000000073A0: 7E34411A
	v_exp_f32_e32 v27, v27                                     // 0000000073A4: 7E36411B
	v_pk_fma_f32 v[28:29], v[28:29], s[46:47], v[168:169]      // 0000000073A8: D3B0401C 1EA05D1C
	v_pk_fma_f32 v[30:31], v[30:31], s[46:47], v[168:169]      // 0000000073B0: D3B0401E 1EA05D1E
	v_exp_f32_e32 v28, v28                                     // 0000000073B8: 7E38411C
	v_exp_f32_e32 v29, v29                                     // 0000000073BC: 7E3A411D
	v_exp_f32_e32 v30, v30                                     // 0000000073C0: 7E3C411E
	v_exp_f32_e32 v31, v31                                     // 0000000073C4: 7E3E411F
	v_pk_fma_f32 v[32:33], v[32:33], s[46:47], v[168:169]      // 0000000073C8: D3B04020 1EA05D20
	v_pk_fma_f32 v[34:35], v[34:35], s[46:47], v[168:169]      // 0000000073D0: D3B04022 1EA05D22
	v_exp_f32_e32 v32, v32                                     // 0000000073D8: 7E404120
	v_exp_f32_e32 v33, v33                                     // 0000000073DC: 7E424121
	v_exp_f32_e32 v34, v34                                     // 0000000073E0: 7E444122
	v_exp_f32_e32 v35, v35                                     // 0000000073E4: 7E464123
	v_max_f32_e32 v199, v190, v196                             // 0000000073E8: 178F89BE
	v_mul_f32_e64 v168, -s46, v199                             // 0000000073EC: D10500A8 20038E2E
	v_mov_b32_e32 v169, v168                                   // 0000000073F4: 7F5203A8
	v_pk_fma_f32 v[36:37], v[36:37], s[46:47], v[168:169]      // 0000000073F8: D3B04024 1EA05D24
	v_pk_fma_f32 v[38:39], v[38:39], s[46:47], v[168:169]      // 000000007400: D3B04026 1EA05D26
	v_exp_f32_e32 v36, v36                                     // 000000007408: 7E484124
	v_exp_f32_e32 v37, v37                                     // 00000000740C: 7E4A4125
	v_exp_f32_e32 v38, v38                                     // 000000007410: 7E4C4126
	v_exp_f32_e32 v39, v39                                     // 000000007414: 7E4E4127
	v_pk_fma_f32 v[40:41], v[40:41], s[46:47], v[168:169]      // 000000007418: D3B04028 1EA05D28
	v_pk_fma_f32 v[42:43], v[42:43], s[46:47], v[168:169]      // 000000007420: D3B0402A 1EA05D2A
	v_exp_f32_e32 v40, v40                                     // 000000007428: 7E504128
	v_exp_f32_e32 v41, v41                                     // 00000000742C: 7E524129
	v_exp_f32_e32 v42, v42                                     // 000000007430: 7E54412A
	v_exp_f32_e32 v43, v43                                     // 000000007434: 7E56412B
	v_mul_f32_dpp v52, v157, v4 row_newbcast:0 row_mask:0xf bank_mask:0xf// 000000007438: 0A6808FA FF01509D
	v_mul_f32_dpp v53, v157, v5 row_newbcast:1 row_mask:0xf bank_mask:0xf// 000000007440: 0A6A0AFA FF01519D
	v_mul_f32_dpp v54, v157, v6 row_newbcast:2 row_mask:0xf bank_mask:0xf// 000000007448: 0A6C0CFA FF01529D
	v_mul_f32_dpp v55, v157, v7 row_newbcast:3 row_mask:0xf bank_mask:0xf// 000000007450: 0A6E0EFA FF01539D
	v_mul_f32_dpp v56, v157, v8 row_newbcast:4 row_mask:0xf bank_mask:0xf// 000000007458: 0A7010FA FF01549D
	v_mul_f32_dpp v57, v157, v9 row_newbcast:5 row_mask:0xf bank_mask:0xf// 000000007460: 0A7212FA FF01559D
	v_mul_f32_dpp v58, v157, v10 row_newbcast:6 row_mask:0xf bank_mask:0xf// 000000007468: 0A7414FA FF01569D
	v_mul_f32_dpp v59, v157, v11 row_newbcast:7 row_mask:0xf bank_mask:0xf// 000000007470: 0A7616FA FF01579D
	v_mul_f32_dpp v60, v157, v12 row_newbcast:8 row_mask:0xf bank_mask:0xf// 000000007478: 0A7818FA FF01589D
	v_mul_f32_dpp v61, v157, v13 row_newbcast:9 row_mask:0xf bank_mask:0xf// 000000007480: 0A7A1AFA FF01599D
	v_mul_f32_dpp v62, v157, v14 row_newbcast:10 row_mask:0xf bank_mask:0xf// 000000007488: 0A7C1CFA FF015A9D
	v_mul_f32_dpp v63, v157, v15 row_newbcast:11 row_mask:0xf bank_mask:0xf// 000000007490: 0A7E1EFA FF015B9D
	v_mul_f32_dpp v64, v157, v16 row_newbcast:12 row_mask:0xf bank_mask:0xf// 000000007498: 0A8020FA FF015C9D
	v_mul_f32_dpp v65, v157, v17 row_newbcast:13 row_mask:0xf bank_mask:0xf// 0000000074A0: 0A8222FA FF015D9D
	v_mul_f32_dpp v66, v157, v18 row_newbcast:14 row_mask:0xf bank_mask:0xf// 0000000074A8: 0A8424FA FF015E9D
	v_mul_f32_dpp v67, v157, v19 row_newbcast:15 row_mask:0xf bank_mask:0xf// 0000000074B0: 0A8626FA FF015F9D
	v_mul_f32_dpp v68, v157, v20 row_newbcast:0 row_mask:0xf bank_mask:0xf// 0000000074B8: 0A8828FA FF01509D
	v_mul_f32_dpp v69, v157, v21 row_newbcast:1 row_mask:0xf bank_mask:0xf// 0000000074C0: 0A8A2AFA FF01519D
	v_mul_f32_dpp v70, v157, v22 row_newbcast:2 row_mask:0xf bank_mask:0xf// 0000000074C8: 0A8C2CFA FF01529D
	v_mul_f32_dpp v71, v157, v23 row_newbcast:3 row_mask:0xf bank_mask:0xf// 0000000074D0: 0A8E2EFA FF01539D
	v_mul_f32_dpp v72, v157, v24 row_newbcast:4 row_mask:0xf bank_mask:0xf// 0000000074D8: 0A9030FA FF01549D
	v_mul_f32_dpp v73, v157, v25 row_newbcast:5 row_mask:0xf bank_mask:0xf// 0000000074E0: 0A9232FA FF01559D
	v_mul_f32_dpp v74, v157, v26 row_newbcast:6 row_mask:0xf bank_mask:0xf// 0000000074E8: 0A9434FA FF01569D
	v_mul_f32_dpp v75, v157, v27 row_newbcast:7 row_mask:0xf bank_mask:0xf// 0000000074F0: 0A9636FA FF01579D
	v_mul_f32_dpp v76, v157, v28 row_newbcast:8 row_mask:0xf bank_mask:0xf// 0000000074F8: 0A9838FA FF01589D
	v_mul_f32_dpp v77, v157, v29 row_newbcast:9 row_mask:0xf bank_mask:0xf// 000000007500: 0A9A3AFA FF01599D
	v_mul_f32_dpp v78, v157, v30 row_newbcast:10 row_mask:0xf bank_mask:0xf// 000000007508: 0A9C3CFA FF015A9D
	v_mul_f32_dpp v79, v157, v31 row_newbcast:11 row_mask:0xf bank_mask:0xf// 000000007510: 0A9E3EFA FF015B9D
	v_mul_f32_dpp v80, v157, v32 row_newbcast:12 row_mask:0xf bank_mask:0xf// 000000007518: 0AA040FA FF015C9D
	v_mul_f32_dpp v81, v157, v33 row_newbcast:13 row_mask:0xf bank_mask:0xf// 000000007520: 0AA242FA FF015D9D
	v_mul_f32_dpp v82, v157, v34 row_newbcast:14 row_mask:0xf bank_mask:0xf// 000000007528: 0AA444FA FF015E9D
	v_mul_f32_dpp v83, v157, v35 row_newbcast:15 row_mask:0xf bank_mask:0xf// 000000007530: 0AA646FA FF015F9D
	v_mul_f32_dpp v84, v166, v36 quad_perm:[0,0,0,0] row_mask:0xf bank_mask:0xf// 000000007538: 0AA848FA FF0000A6
	v_mul_f32_dpp v85, v166, v37 quad_perm:[1,1,1,1] row_mask:0xf bank_mask:0xf// 000000007540: 0AAA4AFA FF0055A6
	v_mul_f32_dpp v86, v166, v38 quad_perm:[2,2,2,2] row_mask:0xf bank_mask:0xf// 000000007548: 0AAC4CFA FF00AAA6
	v_mul_f32_dpp v87, v166, v39 quad_perm:[3,3,3,3] row_mask:0xf bank_mask:0xf// 000000007550: 0AAE4EFA FF00FFA6
	v_mul_f32_dpp v88, v167, v40 quad_perm:[0,0,0,0] row_mask:0xf bank_mask:0xf// 000000007558: 0AB050FA FF0000A7
	v_mul_f32_dpp v89, v167, v41 quad_perm:[1,1,1,1] row_mask:0xf bank_mask:0xf// 000000007560: 0AB252FA FF0055A7
	v_mul_f32_dpp v90, v167, v42 quad_perm:[2,2,2,2] row_mask:0xf bank_mask:0xf// 000000007568: 0AB454FA FF00AAA7
	v_mul_f32_dpp v91, v167, v43 quad_perm:[3,3,3,3] row_mask:0xf bank_mask:0xf// 000000007570: 0AB656FA FF00FFA7
	v_mov_b32_e32 v190, 0x358637bd                             // 000000007578: 7F7C02FF 358637BD
	v_max3_f32 v190, |v84|, |v85|, v190                        // 000000007580: D1D303BE 06FAAB54
	v_max3_f32 v190, |v86|, |v87|, v190                        // 000000007588: D1D303BE 06FAAF56
	v_max3_f32 v190, |v88|, |v89|, v190                        // 000000007590: D1D303BE 06FAB358
	v_max3_f32 v190, |v90|, |v91|, v190                        // 000000007598: D1D303BE 06FAB75A
	v_mov_b32_e32 v189, 0x358637bd                             // 0000000075A0: 7F7A02FF 358637BD
	v_max3_f32 v189, |v68|, |v69|, v189                        // 0000000075A8: D1D303BD 06F68B44
	v_max3_f32 v189, |v70|, |v71|, v189                        // 0000000075B0: D1D303BD 06F68F46
	v_max3_f32 v189, |v72|, |v73|, v189                        // 0000000075B8: D1D303BD 06F69348
	v_max3_f32 v189, |v74|, |v75|, v189                        // 0000000075C0: D1D303BD 06F6974A
	v_max3_f32 v189, |v76|, |v77|, v189                        // 0000000075C8: D1D303BD 06F69B4C
	v_max3_f32 v189, |v78|, |v79|, v189                        // 0000000075D0: D1D303BD 06F69F4E
	v_max3_f32 v189, |v80|, |v81|, v189                        // 0000000075D8: D1D303BD 06F6A350
	v_max3_f32 v189, |v82|, |v83|, v189                        // 0000000075E0: D1D303BD 06F6A752
	v_mov_b32_e32 v188, 0x358637bd                             // 0000000075E8: 7F7802FF 358637BD
	v_max3_f32 v188, |v52|, |v53|, v188                        // 0000000075F0: D1D303BC 06F26B34
	v_max3_f32 v188, |v54|, |v55|, v188                        // 0000000075F8: D1D303BC 06F26F36
	v_max3_f32 v188, |v56|, |v57|, v188                        // 000000007600: D1D303BC 06F27338
	v_max3_f32 v188, |v58|, |v59|, v188                        // 000000007608: D1D303BC 06F2773A
	v_max3_f32 v188, |v60|, |v61|, v188                        // 000000007610: D1D303BC 06F27B3C
	v_max3_f32 v188, |v62|, |v63|, v188                        // 000000007618: D1D303BC 06F27F3E
	v_max3_f32 v188, |v64|, |v65|, v188                        // 000000007620: D1D303BC 06F28340
	v_max3_f32 v188, |v66|, |v67|, v188                        // 000000007628: D1D303BC 06F28742
	v_max_f32_dpp v190, v190, v190 row_ror:8 row_mask:0xf bank_mask:0xf// 000000007630: 177D7CFA FF0128BE
	ds_bpermute_b32 v172, v212, v188                           // 000000007638: D87E0000 AC00BCD4
	ds_bpermute_b32 v173, v213, v188                           // 000000007640: D87E0000 AD00BCD5
	ds_bpermute_b32 v174, v214, v188                           // 000000007648: D87E0000 AE00BCD6
	ds_bpermute_b32 v175, v212, v189                           // 000000007650: D87E0000 AF00BDD4
	ds_bpermute_b32 v176, v213, v189                           // 000000007658: D87E0000 B000BDD5
	ds_bpermute_b32 v177, v214, v189                           // 000000007660: D87E0000 B100BDD6
	ds_bpermute_b32 v178, v212, v190                           // 000000007668: D87E0000 B200BED4
	ds_bpermute_b32 v179, v213, v190                           // 000000007670: D87E0000 B300BED5
	ds_bpermute_b32 v180, v214, v190                           // 000000007678: D87E0000 B400BED6
	s_waitcnt lgkmcnt(6)                                       // 000000007680: BF8CC67F
	v_max3_f32 v188, v172, v173, v188                          // 000000007684: D1D300BC 06F35BAC
	v_max_f32_e32 v188, v174, v188                             // 00000000768C: 177979AE
	s_waitcnt lgkmcnt(3)                                       // 000000007690: BF8CC37F
	v_max3_f32 v189, v175, v176, v189                          // 000000007694: D1D300BD 06F761AF
	v_max_f32_e32 v189, v177, v189                             // 00000000769C: 177B7BB1
	s_waitcnt lgkmcnt(0)                                       // 0000000076A0: BF8CC07F
	v_max3_f32 v190, v178, v179, v190                          // 0000000076A4: D1D300BE 06FB67B2
	v_max_f32_e32 v190, v180, v190                             // 0000000076AC: 177D7DB4
	ds_write_b128 v252, v[188:191] offset:4096                 // 0000000076B0: D9BE1000 0000BCFC
	buffer_load_dword v154, v238, s[20:23], 0 offen            // 0000000076B8: E0501000 80059AEE
	v_sub_f32_e32 v200, v194, v197                             // 0000000076C0: 05918BC2
	v_cmp_eq_u32_e64 s[98:99], v225, v194                      // 0000000076C4: D0CA0062 000385E1
	v_cndmask_b32_e64 v200, v200, 0, s[98:99]                  // 0000000076CC: D10000C8 018901C8
	v_mov_b32_e32 v194, v197                                   // 0000000076D4: 7F8403C5
	v_mul_f32_e32 v200, s46, v200                              // 0000000076D8: 0B91902E
	v_exp_f32_e32 v200, v200                                   // 0000000076DC: 7F9041C8
	v_sub_f32_e32 v202, v195, v198                             // 0000000076E0: 05958DC3
	v_cmp_eq_u32_e64 s[98:99], v225, v195                      // 0000000076E4: D0CA0062 000387E1
	v_cndmask_b32_e64 v202, v202, 0, s[98:99]                  // 0000000076EC: D10000CA 018901CA
	v_mov_b32_e32 v195, v198                                   // 0000000076F4: 7F8603C6
	v_mul_f32_e32 v202, s46, v202                              // 0000000076F8: 0B95942E
	v_exp_f32_e32 v202, v202                                   // 0000000076FC: 7F9441CA
	v_sub_f32_e32 v204, v196, v199                             // 000000007700: 05998FC4
	v_cmp_eq_u32_e64 s[98:99], v225, v196                      // 000000007704: D0CA0062 000389E1
	v_cndmask_b32_e64 v204, v204, 0, s[98:99]                  // 00000000770C: D10000CC 018901CC
	v_mov_b32_e32 v196, v199                                   // 000000007714: 7F8803C7
	v_mul_f32_e32 v204, s46, v204                              // 000000007718: 0B99982E
	v_exp_f32_e32 v204, v204                                   // 00000000771C: 7F9841CC
	v_mov_b32_e32 v201, v200                                   // 000000007720: 7F9203C8
	v_mov_b32_e32 v203, v202                                   // 000000007724: 7F9603CA
	v_mov_b32_e32 v205, v204                                   // 000000007728: 7F9A03CC
	s_waitcnt lgkmcnt(0)                                       // 00000000772C: BF8CC07F
	s_barrier                                                  // 000000007730: BF8A0000
	ds_read_b128 v[172:175], v253 offset:4096                  // 000000007734: D9FE1000 AC0000FD
	ds_read_b128 v[176:179], v253 offset:4352                  // 00000000773C: D9FE1100 B00000FD
	ds_read_b128 v[180:183], v253 offset:4608                  // 000000007744: D9FE1200 B40000FD
	ds_read_b128 v[184:187], v253 offset:4864                  // 00000000774C: D9FE1300 B80000FD
	buffer_load_dword v156, v239, s[24:27], 0 offen            // 000000007754: E0501000 80069CEF
	v_mul_f32_e32 v206, v200, v206                             // 00000000775C: 0B9D9DC8
	v_mov_b32_e32 v207, 0                                      // 000000007760: 7F9E0280
	v_pk_add_f32 v[206:207], v[4:5], v[206:207]                // 000000007764: D3B240CE 18039D04
	v_pk_add_f32 v[206:207], v[6:7], v[206:207]                // 00000000776C: D3B240CE 18039D06
	v_pk_add_f32 v[206:207], v[8:9], v[206:207]                // 000000007774: D3B240CE 18039D08
	v_pk_add_f32 v[206:207], v[10:11], v[206:207]              // 00000000777C: D3B240CE 18039D0A
	v_pk_add_f32 v[206:207], v[12:13], v[206:207]              // 000000007784: D3B240CE 18039D0C
	v_pk_add_f32 v[206:207], v[14:15], v[206:207]              // 00000000778C: D3B240CE 18039D0E
	v_pk_add_f32 v[206:207], v[16:17], v[206:207]              // 000000007794: D3B240CE 18039D10
	v_pk_add_f32 v[206:207], v[18:19], v[206:207]              // 00000000779C: D3B240CE 18039D12
	v_add_f32_e32 v206, v207, v206                             // 0000000077A4: 039D9DCF
	v_mul_f32_e32 v208, v202, v208                             // 0000000077A8: 0BA1A1CA
	v_mov_b32_e32 v209, 0                                      // 0000000077AC: 7FA20280
	v_pk_add_f32 v[208:209], v[20:21], v[208:209]              // 0000000077B0: D3B240D0 1803A114
	v_pk_add_f32 v[208:209], v[22:23], v[208:209]              // 0000000077B8: D3B240D0 1803A116
	v_pk_add_f32 v[208:209], v[24:25], v[208:209]              // 0000000077C0: D3B240D0 1803A118
	v_pk_add_f32 v[208:209], v[26:27], v[208:209]              // 0000000077C8: D3B240D0 1803A11A
	v_pk_add_f32 v[208:209], v[28:29], v[208:209]              // 0000000077D0: D3B240D0 1803A11C
	v_pk_add_f32 v[208:209], v[30:31], v[208:209]              // 0000000077D8: D3B240D0 1803A11E
	v_pk_add_f32 v[208:209], v[32:33], v[208:209]              // 0000000077E0: D3B240D0 1803A120
	v_pk_add_f32 v[208:209], v[34:35], v[208:209]              // 0000000077E8: D3B240D0 1803A122
	v_add_f32_e32 v208, v209, v208                             // 0000000077F0: 03A1A1D1
	v_mul_f32_e32 v210, v204, v210                             // 0000000077F4: 0BA5A5CC
	v_mov_b32_e32 v211, 0                                      // 0000000077F8: 7FA60280
	v_pk_add_f32 v[210:211], v[36:37], v[210:211]              // 0000000077FC: D3B240D2 1803A524
	v_pk_add_f32 v[210:211], v[38:39], v[210:211]              // 000000007804: D3B240D2 1803A526
	v_pk_add_f32 v[210:211], v[40:41], v[210:211]              // 00000000780C: D3B240D2 1803A528
	v_pk_add_f32 v[210:211], v[42:43], v[210:211]              // 000000007814: D3B240D2 1803A52A
	v_add_f32_e32 v210, v211, v210                             // 00000000781C: 03A5A5D3
	s_waitcnt lgkmcnt(0)                                       // 000000007820: BF8CC07F
	v_max3_f32 v188, v172, v176, v188                          // 000000007824: D1D300BC 06F361AC
	v_max3_f32 v189, v173, v177, v189                          // 00000000782C: D1D300BD 06F763AD
	v_max3_f32 v190, v174, v178, v190                          // 000000007834: D1D300BE 06FB65AE
	v_max3_f32 v188, v180, v184, v188                          // 00000000783C: D1D300BC 06F371B4
	v_max3_f32 v189, v181, v185, v189                          // 000000007844: D1D300BD 06F773B5
	v_max3_f32 v190, v182, v186, v190                          // 00000000784C: D1D300BE 06FB75B6
	v_rcp_f32_e32 v188, v188                                   // 000000007854: 7F7845BC
	v_rcp_f32_e32 v189, v189                                   // 000000007858: 7F7A45BD
	v_rcp_f32_e32 v190, v190                                   // 00000000785C: 7F7C45BE
	v_mul_f32_e32 v188, 0x43700000, v188                       // 000000007860: 0B7978FF 43700000
	v_mul_f32_e32 v189, 0x43700000, v189                       // 000000007868: 0B7B7AFF 43700000
	v_mul_f32_e32 v190, 0x43700000, v190                       // 000000007870: 0B7D7CFF 43700000
	v_mov_b32_e32 v192, v190                                   // 000000007878: 7F8003BE
	v_mov_b32_e32 v193, v190                                   // 00000000787C: 7F8203BE
	v_mov_b32_e32 v190, v189                                   // 000000007880: 7F7C03BD
	v_mov_b32_e32 v191, v189                                   // 000000007884: 7F7E03BD
	v_mov_b32_e32 v189, v188                                   // 000000007888: 7F7A03BC
	v_pk_mul_f32 v[4:5], v[188:189], v[52:53]                  // 00000000788C: D3B14004 180269BC
	v_pk_mul_f32 v[6:7], v[188:189], v[54:55]                  // 000000007894: D3B14006 18026DBC
	v_pk_mul_f32 v[8:9], v[188:189], v[56:57]                  // 00000000789C: D3B14008 180271BC
	v_pk_mul_f32 v[10:11], v[188:189], v[58:59]                // 0000000078A4: D3B1400A 180275BC
	v_pk_mul_f32 v[12:13], v[188:189], v[60:61]                // 0000000078AC: D3B1400C 180279BC
	v_pk_mul_f32 v[14:15], v[188:189], v[62:63]                // 0000000078B4: D3B1400E 18027DBC
	v_pk_mul_f32 v[16:17], v[188:189], v[64:65]                // 0000000078BC: D3B14010 180281BC
	v_pk_mul_f32 v[18:19], v[188:189], v[66:67]                // 0000000078C4: D3B14012 180285BC
	v_pk_mul_f32 v[20:21], v[190:191], v[68:69]                // 0000000078CC: D3B14014 180289BE
	v_pk_mul_f32 v[22:23], v[190:191], v[70:71]                // 0000000078D4: D3B14016 18028DBE
	v_pk_mul_f32 v[24:25], v[190:191], v[72:73]                // 0000000078DC: D3B14018 180291BE
	v_pk_mul_f32 v[26:27], v[190:191], v[74:75]                // 0000000078E4: D3B1401A 180295BE
	v_pk_mul_f32 v[28:29], v[190:191], v[76:77]                // 0000000078EC: D3B1401C 180299BE
	v_pk_mul_f32 v[30:31], v[190:191], v[78:79]                // 0000000078F4: D3B1401E 18029DBE
	v_pk_mul_f32 v[32:33], v[190:191], v[80:81]                // 0000000078FC: D3B14020 1802A1BE
	v_pk_mul_f32 v[34:35], v[190:191], v[82:83]                // 000000007904: D3B14022 1802A5BE
	v_pk_mul_f32 v[36:37], v[192:193], v[84:85]                // 00000000790C: D3B14024 1802A9C0
	v_pk_mul_f32 v[38:39], v[192:193], v[86:87]                // 000000007914: D3B14026 1802ADC0
	v_pk_mul_f32 v[40:41], v[192:193], v[88:89]                // 00000000791C: D3B14028 1802B1C0
	v_pk_mul_f32 v[42:43], v[192:193], v[90:91]                // 000000007924: D3B1402A 1802B5C0
	v_cvt_pk_fp8_f32 v4, v4, v5                                // 00000000792C: D2A20004 00020B04
	v_cvt_pk_fp8_f32 v4, v6, v7 op_sel:[0,0,1]                 // 000000007934: D2A24004 00020F06
	v_cvt_pk_fp8_f32 v5, v8, v9                                // 00000000793C: D2A20005 00021308
	v_cvt_pk_fp8_f32 v5, v10, v11 op_sel:[0,0,1]               // 000000007944: D2A24005 0002170A
	v_cvt_pk_fp8_f32 v6, v12, v13                              // 00000000794C: D2A20006 00021B0C
	v_cvt_pk_fp8_f32 v6, v14, v15 op_sel:[0,0,1]               // 000000007954: D2A24006 00021F0E
	v_cvt_pk_fp8_f32 v7, v16, v17                              // 00000000795C: D2A20007 00022310
	v_cvt_pk_fp8_f32 v7, v18, v19 op_sel:[0,0,1]               // 000000007964: D2A24007 00022712
	v_cvt_pk_fp8_f32 v8, v20, v21                              // 00000000796C: D2A20008 00022B14
	v_cvt_pk_fp8_f32 v8, v22, v23 op_sel:[0,0,1]               // 000000007974: D2A24008 00022F16
	v_cvt_pk_fp8_f32 v9, v24, v25                              // 00000000797C: D2A20009 00023318
	v_cvt_pk_fp8_f32 v9, v26, v27 op_sel:[0,0,1]               // 000000007984: D2A24009 0002371A
	v_cvt_pk_fp8_f32 v10, v28, v29                             // 00000000798C: D2A2000A 00023B1C
	v_cvt_pk_fp8_f32 v10, v30, v31 op_sel:[0,0,1]              // 000000007994: D2A2400A 00023F1E
	v_cvt_pk_fp8_f32 v11, v32, v33                             // 00000000799C: D2A2000B 00024320
	v_cvt_pk_fp8_f32 v11, v34, v35 op_sel:[0,0,1]              // 0000000079A4: D2A2400B 00024722
	v_cvt_pk_fp8_f32 v12, v36, v37                             // 0000000079AC: D2A2000C 00024B24
	v_cvt_pk_fp8_f32 v12, v38, v39 op_sel:[0,0,1]              // 0000000079B4: D2A2400C 00024F26
	v_cvt_pk_fp8_f32 v13, v40, v41                             // 0000000079BC: D2A2000D 00025328
	v_cvt_pk_fp8_f32 v13, v42, v43 op_sel:[0,0,1]              // 0000000079C4: D2A2400D 0002572A
	v_mov_b32_dpp v14, v12 row_shl:8 row_mask:0xf bank_mask:0xf bound_ctrl:1// 0000000079CC: 7E1C02FA FF09080C
	v_and_b32_e32 v12, v12, v224                               // 0000000079D4: 2619C10C
	v_mov_b32_dpp v15, v13 row_shl:8 row_mask:0xf bank_mask:0xf bound_ctrl:1// 0000000079D8: 7E1E02FA FF09080D
	v_and_b32_e32 v13, v13, v224                               // 0000000079E0: 261BC10D
	ds_write_b32 v254, v4 offset:8192                          // 0000000079E4: D81A2000 000004FE
	ds_write_b32 v254, v5 offset:9216                          // 0000000079EC: D81A2400 000005FE
	ds_write_b32 v254, v6 offset:10240                         // 0000000079F4: D81A2800 000006FE
	ds_write_b32 v254, v7 offset:11264                         // 0000000079FC: D81A2C00 000007FE
	ds_write_b32 v254, v8 offset:12288                         // 000000007A04: D81A3000 000008FE
	ds_write_b32 v254, v9 offset:13312                         // 000000007A0C: D81A3400 000009FE
	ds_write_b32 v254, v10 offset:14336                        // 000000007A14: D81A3800 00000AFE
	ds_write_b32 v254, v11 offset:15360                        // 000000007A1C: D81A3C00 00000BFE
	ds_write_b32 v254, v12 offset:16384                        // 000000007A24: D81A4000 00000CFE
	ds_write_b32 v254, v13 offset:17408                        // 000000007A2C: D81A4400 00000DFE
	ds_write_b32 v254, v14 offset:18432                        // 000000007A34: D81A4800 00000EFE
	ds_write_b32 v254, v15 offset:19456                        // 000000007A3C: D81A4C00 00000FFE
	v_rcp_f32_e32 v158, v188                                   // 000000007A44: 7F3C45BC
	v_rcp_f32_e32 v160, v190                                   // 000000007A48: 7F4045BE
	v_rcp_f32_e32 v162, v192                                   // 000000007A4C: 7F4445C0
	v_mov_b32_e32 v159, v158                                   // 000000007A50: 7F3E039E
	v_mov_b32_e32 v161, v160                                   // 000000007A54: 7F4203A0
	v_mov_b32_e32 v163, v162                                   // 000000007A58: 7F4603A2
	v_pk_add_f32 v[124:125], v[124:125], v[100:101]            // 000000007A5C: D3B2407C 1802C97C
	v_pk_add_f32 v[126:127], v[126:127], v[102:103]            // 000000007A64: D3B2407E 1802CD7E
	v_pk_add_f32 v[128:129], v[128:129], v[104:105]            // 000000007A6C: D3B24080 1802D180
	v_pk_add_f32 v[130:131], v[130:131], v[106:107]            // 000000007A74: D3B24082 1802D582
	v_pk_add_f32 v[132:133], v[132:133], v[108:109]            // 000000007A7C: D3B24084 1802D984
	v_pk_add_f32 v[134:135], v[134:135], v[110:111]            // 000000007A84: D3B24086 1802DD86
	v_pk_add_f32 v[136:137], v[136:137], v[112:113]            // 000000007A8C: D3B24088 1802E188
	v_pk_add_f32 v[138:139], v[138:139], v[114:115]            // 000000007A94: D3B2408A 1802E58A
	v_pk_add_f32 v[140:141], v[140:141], v[116:117]            // 000000007A9C: D3B2408C 1802E98C
	v_pk_add_f32 v[142:143], v[142:143], v[118:119]            // 000000007AA4: D3B2408E 1802ED8E
	v_pk_add_f32 v[144:145], v[144:145], v[120:121]            // 000000007AAC: D3B24090 1802F190
	v_pk_add_f32 v[146:147], v[146:147], v[122:123]            // 000000007AB4: D3B24092 1802F592
	s_waitcnt lgkmcnt(0)                                       // 000000007ABC: BF8CC07F
	s_barrier                                                  // 000000007AC0: BF8A0000
	ds_read_b128 v[4:7], v255 offset:8192                      // 000000007AC4: D9FE2000 040000FF
	ds_read_b128 v[8:11], v255 offset:9216                     // 000000007ACC: D9FE2400 080000FF
	ds_read_b128 v[12:15], v255 offset:10240                   // 000000007AD4: D9FE2800 0C0000FF
	ds_read_b128 v[16:19], v255 offset:11264                   // 000000007ADC: D9FE2C00 100000FF
	ds_read_b128 v[20:23], v255 offset:12288                   // 000000007AE4: D9FE3000 140000FF
	ds_read_b128 v[24:27], v255 offset:13312                   // 000000007AEC: D9FE3400 180000FF
	ds_read_b128 v[28:31], v255 offset:14336                   // 000000007AF4: D9FE3800 1C0000FF
	ds_read_b128 v[32:35], v255 offset:15360                   // 000000007AFC: D9FE3C00 200000FF
	ds_read_b128 v[36:39], v255 offset:16384                   // 000000007B04: D9FE4000 240000FF
	ds_read_b128 v[40:43], v255 offset:17408                   // 000000007B0C: D9FE4400 280000FF
	ds_read_b128 v[44:47], v255 offset:18432                   // 000000007B14: D9FE4800 2C0000FF
	ds_read_b128 v[48:51], v255 offset:19456                   // 000000007B1C: D9FE4C00 300000FF
	s_waitcnt vmcnt(10)                                        // 000000007B24: BF8C0F7A
	s_waitcnt lgkmcnt(11)                                      // 000000007B28: BF8CCB7F
	v_mfma_f32_16x16x32_fp8_fp8 v[100:103], a[120:121], v[4:5], 0// 000000007B2C: D3F30064 0A020978
	v_mfma_f32_16x16x32_fp8_fp8 v[104:107], a[136:137], v[4:5], 0// 000000007B34: D3F30068 0A020988
	v_mfma_f32_16x16x32_fp8_fp8 v[100:103], a[122:123], v[6:7], v[100:103]// 000000007B3C: D3F30064 0D920D7A
	buffer_load_dwordx4 a[88:91], v234, s[16:19], 0 offen      // 000000007B44: E05C1000 808458EA
	v_mfma_f32_16x16x32_fp8_fp8 v[104:107], a[138:139], v[6:7], v[104:107]// 000000007B4C: D3F30068 0DA20D8A
	s_waitcnt lgkmcnt(10)                                      // 000000007B54: BF8CCA7F
	v_mfma_f32_16x16x32_fp8_fp8 v[100:103], a[124:125], v[8:9], v[100:103]// 000000007B58: D3F30064 0D92117C
	v_mfma_f32_16x16x32_fp8_fp8 v[104:107], a[140:141], v[8:9], v[104:107]// 000000007B60: D3F30068 0DA2118C
	v_mfma_f32_16x16x32_fp8_fp8 v[100:103], a[126:127], v[10:11], v[100:103]// 000000007B68: D3F30064 0D92157E
	buffer_load_dwordx4 a[92:95], v235, s[16:19], 0 offen      // 000000007B70: E05C1000 80845CEB
	v_mfma_f32_16x16x32_fp8_fp8 v[104:107], a[142:143], v[10:11], v[104:107]// 000000007B78: D3F30068 0DA2158E
	s_waitcnt lgkmcnt(9)                                       // 000000007B80: BF8CC97F
	v_mfma_f32_16x16x32_fp8_fp8 v[100:103], a[128:129], v[12:13], v[100:103]// 000000007B84: D3F30064 0D921980
	v_mfma_f32_16x16x32_fp8_fp8 v[104:107], a[144:145], v[12:13], v[104:107]// 000000007B8C: D3F30068 0DA21990
	v_mfma_f32_16x16x32_fp8_fp8 v[100:103], a[130:131], v[14:15], v[100:103]// 000000007B94: D3F30064 0D921D82
	buffer_load_dwordx4 a[96:99], v236, s[16:19], 0 offen      // 000000007B9C: E05C1000 808460EC
	v_mfma_f32_16x16x32_fp8_fp8 v[104:107], a[146:147], v[14:15], v[104:107]// 000000007BA4: D3F30068 0DA21D92
	s_waitcnt lgkmcnt(8)                                       // 000000007BAC: BF8CC87F
	v_mfma_f32_16x16x32_fp8_fp8 v[100:103], a[132:133], v[16:17], v[100:103]// 000000007BB0: D3F30064 0D922184
	v_mfma_f32_16x16x32_fp8_fp8 v[104:107], a[148:149], v[16:17], v[104:107]// 000000007BB8: D3F30068 0DA22194
	v_mfma_f32_16x16x32_fp8_fp8 v[100:103], a[134:135], v[18:19], v[100:103]// 000000007BC0: D3F30064 0D922586
	buffer_load_dwordx4 a[100:103], v237, s[16:19], 0 offen    // 000000007BC8: E05C1000 808464ED
	v_mfma_f32_16x16x32_fp8_fp8 v[104:107], a[150:151], v[18:19], v[104:107]// 000000007BD0: D3F30068 0DA22596
	s_waitcnt lgkmcnt(7)                                       // 000000007BD8: BF8CC77F
	v_mfma_f32_16x16x32_fp8_fp8 v[108:111], a[120:121], v[20:21], 0// 000000007BDC: D3F3006C 0A022978
	v_mfma_f32_16x16x32_fp8_fp8 v[112:115], a[136:137], v[20:21], 0// 000000007BE4: D3F30070 0A022988
	v_mfma_f32_16x16x32_fp8_fp8 v[108:111], a[122:123], v[22:23], v[108:111]// 000000007BEC: D3F3006C 0DB22D7A
	buffer_load_dwordx4 a[104:107], v234, s[16:19], 0 offen offset:1024// 000000007BF4: E05C1400 808468EA
	v_mfma_f32_16x16x32_fp8_fp8 v[112:115], a[138:139], v[22:23], v[112:115]// 000000007BFC: D3F30070 0DC22D8A
	s_waitcnt lgkmcnt(6)                                       // 000000007C04: BF8CC67F
	v_mfma_f32_16x16x32_fp8_fp8 v[108:111], a[124:125], v[24:25], v[108:111]// 000000007C08: D3F3006C 0DB2317C
	v_mfma_f32_16x16x32_fp8_fp8 v[112:115], a[140:141], v[24:25], v[112:115]// 000000007C10: D3F30070 0DC2318C
	v_mfma_f32_16x16x32_fp8_fp8 v[108:111], a[126:127], v[26:27], v[108:111]// 000000007C18: D3F3006C 0DB2357E
	buffer_load_dwordx4 a[108:111], v235, s[16:19], 0 offen offset:1024// 000000007C20: E05C1400 80846CEB
	v_mfma_f32_16x16x32_fp8_fp8 v[112:115], a[142:143], v[26:27], v[112:115]// 000000007C28: D3F30070 0DC2358E
	s_waitcnt lgkmcnt(5)                                       // 000000007C30: BF8CC57F
	v_mfma_f32_16x16x32_fp8_fp8 v[108:111], a[128:129], v[28:29], v[108:111]// 000000007C34: D3F3006C 0DB23980
	v_mfma_f32_16x16x32_fp8_fp8 v[112:115], a[144:145], v[28:29], v[112:115]// 000000007C3C: D3F30070 0DC23990
	v_mfma_f32_16x16x32_fp8_fp8 v[108:111], a[130:131], v[30:31], v[108:111]// 000000007C44: D3F3006C 0DB23D82
	buffer_load_dwordx4 a[112:115], v236, s[16:19], 0 offen offset:1024// 000000007C4C: E05C1400 808470EC
	v_mfma_f32_16x16x32_fp8_fp8 v[112:115], a[146:147], v[30:31], v[112:115]// 000000007C54: D3F30070 0DC23D92
	s_waitcnt lgkmcnt(4)                                       // 000000007C5C: BF8CC47F
	v_mfma_f32_16x16x32_fp8_fp8 v[108:111], a[132:133], v[32:33], v[108:111]// 000000007C60: D3F3006C 0DB24184
	v_mfma_f32_16x16x32_fp8_fp8 v[112:115], a[148:149], v[32:33], v[112:115]// 000000007C68: D3F30070 0DC24194
	v_mfma_f32_16x16x32_fp8_fp8 v[108:111], a[134:135], v[34:35], v[108:111]// 000000007C70: D3F3006C 0DB24586
	buffer_load_dwordx4 a[116:119], v237, s[16:19], 0 offen offset:1024// 000000007C78: E05C1400 808474ED
	v_mfma_f32_16x16x32_fp8_fp8 v[112:115], a[150:151], v[34:35], v[112:115]// 000000007C80: D3F30070 0DC24596
	s_waitcnt lgkmcnt(3)                                       // 000000007C88: BF8CC37F
	v_mfma_f32_16x16x32_fp8_fp8 v[116:119], a[120:121], v[36:37], 0// 000000007C8C: D3F30074 0A024978
	v_mfma_f32_16x16x32_fp8_fp8 v[120:123], a[136:137], v[36:37], 0// 000000007C94: D3F30078 0A024988
	v_mfma_f32_16x16x32_fp8_fp8 v[116:119], a[122:123], v[38:39], v[116:119]// 000000007C9C: D3F30074 0DD24D7A
	v_mfma_f32_16x16x32_fp8_fp8 v[120:123], a[138:139], v[38:39], v[120:123]// 000000007CA4: D3F30078 0DE24D8A
	s_waitcnt lgkmcnt(2)                                       // 000000007CAC: BF8CC27F
	v_mfma_f32_16x16x32_fp8_fp8 v[116:119], a[124:125], v[40:41], v[116:119]// 000000007CB0: D3F30074 0DD2517C
	v_mfma_f32_16x16x32_fp8_fp8 v[120:123], a[140:141], v[40:41], v[120:123]// 000000007CB8: D3F30078 0DE2518C
	v_mfma_f32_16x16x32_fp8_fp8 v[116:119], a[126:127], v[42:43], v[116:119]// 000000007CC0: D3F30074 0DD2557E
	v_mfma_f32_16x16x32_fp8_fp8 v[120:123], a[142:143], v[42:43], v[120:123]// 000000007CC8: D3F30078 0DE2558E
	s_waitcnt lgkmcnt(1)                                       // 000000007CD0: BF8CC17F
	v_mfma_f32_16x16x32_fp8_fp8 v[116:119], a[128:129], v[44:45], v[116:119]// 000000007CD4: D3F30074 0DD25980
	v_mfma_f32_16x16x32_fp8_fp8 v[120:123], a[144:145], v[44:45], v[120:123]// 000000007CDC: D3F30078 0DE25990
	v_mfma_f32_16x16x32_fp8_fp8 v[116:119], a[130:131], v[46:47], v[116:119]// 000000007CE4: D3F30074 0DD25D82
	v_mfma_f32_16x16x32_fp8_fp8 v[120:123], a[146:147], v[46:47], v[120:123]// 000000007CEC: D3F30078 0DE25D92
	s_waitcnt lgkmcnt(0)                                       // 000000007CF4: BF8CC07F
	v_mfma_f32_16x16x32_fp8_fp8 v[116:119], a[132:133], v[48:49], v[116:119]// 000000007CF8: D3F30074 0DD26184
	v_mfma_f32_16x16x32_fp8_fp8 v[120:123], a[148:149], v[48:49], v[120:123]// 000000007D00: D3F30078 0DE26194
	v_mfma_f32_16x16x32_fp8_fp8 v[116:119], a[134:135], v[50:51], v[116:119]// 000000007D08: D3F30074 0DD26586
	v_mfma_f32_16x16x32_fp8_fp8 v[120:123], a[150:151], v[50:51], v[120:123]// 000000007D10: D3F30078 0DE26596
	s_addk_i32 s64, 0x100                                      // 000000007D18: B7400100
	s_branch label_0434                                        // 000000007D1C: BF82EEEC

0000000000007d20 <label_1548>:
	s_cmp_lt_i32 s64, s63                                      // 000000007D20: BF043F40
	s_cbranch_scc0 label_265C                                  // 000000007D24: BF841112
	s_waitcnt vmcnt(10)                                        // 000000007D28: BF8C0F7A
	v_mfma_f32_16x16x32_fp8_fp8 v[4:7], a[24:25], a[0:1], 0    // 000000007D2C: D3F30004 1A020118
	s_add_u32 s12, s86, s69                                    // 000000007D34: 800C4556
	s_addc_u32 s13, s87, 0                                     // 000000007D38: 820D8057
	v_mfma_f32_16x16x32_fp8_fp8 v[4:7], a[26:27], a[2:3], v[4:7]// 000000007D3C: D3F30004 1C12051A
	s_add_u32 s16, s88, s70                                    // 000000007D44: 80104658
	s_addc_u32 s17, s89, 0                                     // 000000007D48: 82118059
	v_mfma_f32_16x16x32_fp8_fp8 v[4:7], a[28:29], a[4:5], v[4:7]// 000000007D4C: D3F30004 1C12091C
	buffer_load_dwordx4 a[56:59], v232, s[12:15], 0 offen      // 000000007D54: E05C1000 808338E8
	v_mfma_f32_16x16x32_fp8_fp8 v[4:7], a[30:31], a[6:7], v[4:7]// 000000007D5C: D3F30004 1C120D1E
	s_add_u32 s20, s90, s71                                    // 000000007D64: 8014475A
	s_addc_u32 s21, s91, 0                                     // 000000007D68: 8215805B
	v_mfma_f32_16x16x32_fp8_fp8 v[8:11], a[32:33], a[0:1], 0   // 000000007D6C: D3F30008 1A020120
	s_add_u32 s24, s92, s71                                    // 000000007D74: 8018475C
	s_addc_u32 s25, s93, 0                                     // 000000007D78: 8219805D
	v_mfma_f32_16x16x32_fp8_fp8 v[8:11], a[34:35], a[2:3], v[8:11]// 000000007D7C: D3F30008 1C220522
	s_add_u32 s69, s69, 0x1000                                 // 000000007D84: 8045FF45 00001000
	s_add_u32 s70, s70, 0x8000                                 // 000000007D8C: 8046FF46 00008000
	v_mfma_f32_16x16x32_fp8_fp8 v[8:11], a[36:37], a[4:5], v[8:11]// 000000007D94: D3F30008 1C220924
	buffer_load_dwordx4 a[60:63], v233, s[12:15], 0 offen      // 000000007D9C: E05C1000 80833CE9
	v_mfma_f32_16x16x32_fp8_fp8 v[8:11], a[38:39], a[6:7], v[8:11]// 000000007DA4: D3F30008 1C220D26
	s_add_u32 s71, s71, 0x400                                  // 000000007DAC: 8047FF47 00000400
	v_mfma_f32_16x16x32_fp8_fp8 v[12:15], a[40:41], a[0:1], 0  // 000000007DB4: D3F3000C 1A020128
	v_mfma_f32_16x16x32_fp8_fp8 v[12:15], a[42:43], a[2:3], v[12:15]// 000000007DBC: D3F3000C 1C32052A
	v_mfma_f32_16x16x32_fp8_fp8 v[12:15], a[44:45], a[4:5], v[12:15]// 000000007DC4: D3F3000C 1C32092C
	buffer_load_dwordx4 a[64:67], v232, s[12:15], 0 offen offset:1024// 000000007DCC: E05C1400 808340E8
	v_mfma_f32_16x16x32_fp8_fp8 v[12:15], a[46:47], a[6:7], v[12:15]// 000000007DD4: D3F3000C 1C320D2E
	v_mfma_f32_16x16x32_fp8_fp8 v[16:19], a[48:49], a[0:1], 0  // 000000007DDC: D3F30010 1A020130
	v_mfma_f32_16x16x32_fp8_fp8 v[16:19], a[50:51], a[2:3], v[16:19]// 000000007DE4: D3F30010 1C420532
	v_mfma_f32_16x16x32_fp8_fp8 v[16:19], a[52:53], a[4:5], v[16:19]// 000000007DEC: D3F30010 1C420934
	buffer_load_dwordx4 a[68:71], v233, s[12:15], 0 offen offset:1024// 000000007DF4: E05C1400 808344E9
	v_mfma_f32_16x16x32_fp8_fp8 v[16:19], a[54:55], a[6:7], v[16:19]// 000000007DFC: D3F30010 1C420D36
	v_mfma_f32_16x16x32_fp8_fp8 v[20:23], a[24:25], a[8:9], 0  // 000000007E04: D3F30014 1A021118
	v_mfma_f32_16x16x32_fp8_fp8 v[20:23], a[26:27], a[10:11], v[20:23]// 000000007E0C: D3F30014 1C52151A
	v_mfma_f32_16x16x32_fp8_fp8 v[20:23], a[28:29], a[12:13], v[20:23]// 000000007E14: D3F30014 1C52191C
	buffer_load_dwordx4 a[72:75], v232, s[12:15], 0 offen offset:2048// 000000007E1C: E05C1800 808348E8
	v_mfma_f32_16x16x32_fp8_fp8 v[20:23], a[30:31], a[14:15], v[20:23]// 000000007E24: D3F30014 1C521D1E
	v_mfma_f32_16x16x32_fp8_fp8 v[24:27], a[32:33], a[8:9], 0  // 000000007E2C: D3F30018 1A021120
	v_mfma_f32_16x16x32_fp8_fp8 v[24:27], a[34:35], a[10:11], v[24:27]// 000000007E34: D3F30018 1C621522
	v_mfma_f32_16x16x32_fp8_fp8 v[24:27], a[36:37], a[12:13], v[24:27]// 000000007E3C: D3F30018 1C621924
	buffer_load_dwordx4 a[76:79], v233, s[12:15], 0 offen offset:2048// 000000007E44: E05C1800 80834CE9
	v_mfma_f32_16x16x32_fp8_fp8 v[24:27], a[38:39], a[14:15], v[24:27]// 000000007E4C: D3F30018 1C621D26
	v_mfma_f32_16x16x32_fp8_fp8 v[28:31], a[40:41], a[8:9], 0  // 000000007E54: D3F3001C 1A021128
	v_mfma_f32_16x16x32_fp8_fp8 v[28:31], a[42:43], a[10:11], v[28:31]// 000000007E5C: D3F3001C 1C72152A
	v_mfma_f32_16x16x32_fp8_fp8 v[28:31], a[44:45], a[12:13], v[28:31]// 000000007E64: D3F3001C 1C72192C
	buffer_load_dwordx4 a[80:83], v232, s[12:15], 0 offen offset:3072// 000000007E6C: E05C1C00 808350E8
	v_mfma_f32_16x16x32_fp8_fp8 v[28:31], a[46:47], a[14:15], v[28:31]// 000000007E74: D3F3001C 1C721D2E
	v_mfma_f32_16x16x32_fp8_fp8 v[32:35], a[48:49], a[8:9], 0  // 000000007E7C: D3F30020 1A021130
	v_mfma_f32_16x16x32_fp8_fp8 v[32:35], a[50:51], a[10:11], v[32:35]// 000000007E84: D3F30020 1C821532
	v_mfma_f32_16x16x32_fp8_fp8 v[32:35], a[52:53], a[12:13], v[32:35]// 000000007E8C: D3F30020 1C821934
	buffer_load_dwordx4 a[84:87], v233, s[12:15], 0 offen offset:3072// 000000007E94: E05C1C00 808354E9
	v_mfma_f32_16x16x32_fp8_fp8 v[32:35], a[54:55], a[14:15], v[32:35]// 000000007E9C: D3F30020 1C821D36
	v_mfma_f32_16x16x32_fp8_fp8 v[36:39], a[24:25], a[16:17], 0// 000000007EA4: D3F30024 1A022118
	v_mfma_f32_16x16x32_fp8_fp8 v[36:39], a[26:27], a[18:19], v[36:39]// 000000007EAC: D3F30024 1C92251A
	v_mfma_f32_16x16x32_fp8_fp8 v[36:39], a[28:29], a[20:21], v[36:39]// 000000007EB4: D3F30024 1C92291C
	v_mfma_f32_16x16x32_fp8_fp8 v[36:39], a[30:31], a[22:23], v[36:39]// 000000007EBC: D3F30024 1C922D1E
	v_mfma_f32_16x16x32_fp8_fp8 v[40:43], a[32:33], a[16:17], 0// 000000007EC4: D3F30028 1A022120
	v_mfma_f32_16x16x32_fp8_fp8 v[40:43], a[34:35], a[18:19], v[40:43]// 000000007ECC: D3F30028 1CA22522
	v_mfma_f32_16x16x32_fp8_fp8 v[40:43], a[36:37], a[20:21], v[40:43]// 000000007ED4: D3F30028 1CA22924
	v_mfma_f32_16x16x32_fp8_fp8 v[40:43], a[38:39], a[22:23], v[40:43]// 000000007EDC: D3F30028 1CA22D26
	v_mfma_f32_16x16x32_fp8_fp8 v[44:47], a[40:41], a[16:17], 0// 000000007EE4: D3F3002C 1A022128
	v_mfma_f32_16x16x32_fp8_fp8 v[44:47], a[42:43], a[18:19], v[44:47]// 000000007EEC: D3F3002C 1CB2252A
	v_mfma_f32_16x16x32_fp8_fp8 v[44:47], a[44:45], a[20:21], v[44:47]// 000000007EF4: D3F3002C 1CB2292C
	v_mfma_f32_16x16x32_fp8_fp8 v[44:47], a[46:47], a[22:23], v[44:47]// 000000007EFC: D3F3002C 1CB22D2E
	v_mfma_f32_16x16x32_fp8_fp8 v[48:51], a[48:49], a[16:17], 0// 000000007F04: D3F30030 1A022130
	v_mfma_f32_16x16x32_fp8_fp8 v[48:51], a[50:51], a[18:19], v[48:51]// 000000007F0C: D3F30030 1CC22532
	v_mfma_f32_16x16x32_fp8_fp8 v[48:51], a[52:53], a[20:21], v[48:51]// 000000007F14: D3F30030 1CC22934
	v_mfma_f32_16x16x32_fp8_fp8 v[48:51], a[54:55], a[22:23], v[48:51]// 000000007F1C: D3F30030 1CC22D36
	s_waitcnt vmcnt(16)                                        // 000000007F24: BF8C4F70
	v_or_b32_dpp v36, v44, v36 row_shr:8 row_mask:0xf bank_mask:0xf bound_ctrl:1// 000000007F28: 284848FA FF09182C
	v_or_b32_dpp v37, v45, v37 row_shr:8 row_mask:0xf bank_mask:0xf bound_ctrl:1// 000000007F30: 284A4AFA FF09182D
	v_or_b32_dpp v38, v46, v38 row_shr:8 row_mask:0xf bank_mask:0xf bound_ctrl:1// 000000007F38: 284C4CFA FF09182E
	v_or_b32_dpp v39, v47, v39 row_shr:8 row_mask:0xf bank_mask:0xf bound_ctrl:1// 000000007F40: 284E4EFA FF09182F
	v_or_b32_dpp v40, v48, v40 row_shr:8 row_mask:0xf bank_mask:0xf bound_ctrl:1// 000000007F48: 285050FA FF091830
	v_or_b32_dpp v41, v49, v41 row_shr:8 row_mask:0xf bank_mask:0xf bound_ctrl:1// 000000007F50: 285252FA FF091831
	v_or_b32_dpp v42, v50, v42 row_shr:8 row_mask:0xf bank_mask:0xf bound_ctrl:1// 000000007F58: 285454FA FF091832
	v_or_b32_dpp v43, v51, v43 row_shr:8 row_mask:0xf bank_mask:0xf bound_ctrl:1// 000000007F60: 285656FA FF091833
	v_mov_b32_dpp v168, v154 row_shr:4 row_mask:0xf bank_mask:0xf// 000000007F68: 7F5002FA FF01149A
	v_mov_b32_dpp v169, v154 row_shl:4 row_mask:0xf bank_mask:0xf// 000000007F70: 7F5202FA FF01049A
	v_cndmask_b32_e64 v164, v154, v168, s[2:3]                 // 000000007F78: D10000A4 000B519A
	v_cndmask_b32_e64 v165, v169, v154, s[2:3]                 // 000000007F80: D10000A5 000B35A9
	v_mov_b32_dpp v168, v156 row_shr:4 row_mask:0xf bank_mask:0xf// 000000007F88: 7F5002FA FF01149C
	v_mov_b32_dpp v169, v156 row_shl:4 row_mask:0xf bank_mask:0xf// 000000007F90: 7F5202FA FF01049C
	v_cndmask_b32_e64 v166, v156, v168, s[2:3]                 // 000000007F98: D10000A6 000B519C
	v_cndmask_b32_e64 v167, v169, v156, s[2:3]                 // 000000007FA0: D10000A7 000B39A9
	v_pk_mul_f32 v[4:5], v[148:149], v[4:5]                    // 000000007FA8: D3B14004 18020994
	v_pk_mul_f32 v[6:7], v[148:149], v[6:7]                    // 000000007FB0: D3B14006 18020D94
	v_pk_mul_f32 v[8:9], v[148:149], v[8:9]                    // 000000007FB8: D3B14008 18021194
	v_pk_mul_f32 v[10:11], v[148:149], v[10:11]                // 000000007FC0: D3B1400A 18021594
	v_pk_mul_f32 v[12:13], v[148:149], v[12:13]                // 000000007FC8: D3B1400C 18021994
	v_pk_mul_f32 v[14:15], v[148:149], v[14:15]                // 000000007FD0: D3B1400E 18021D94
	v_pk_mul_f32 v[16:17], v[148:149], v[16:17]                // 000000007FD8: D3B14010 18022194
	v_pk_mul_f32 v[18:19], v[148:149], v[18:19]                // 000000007FE0: D3B14012 18022594
	v_mul_f32_dpp v4, v154, v4 row_newbcast:0 row_mask:0xf bank_mask:0xf// 000000007FE8: 0A0808FA FF01509A
	v_mul_f32_dpp v5, v154, v5 row_newbcast:1 row_mask:0xf bank_mask:0xf// 000000007FF0: 0A0A0AFA FF01519A
	v_mul_f32_dpp v6, v154, v6 row_newbcast:2 row_mask:0xf bank_mask:0xf// 000000007FF8: 0A0C0CFA FF01529A
	v_mul_f32_dpp v7, v154, v7 row_newbcast:3 row_mask:0xf bank_mask:0xf// 000000008000: 0A0E0EFA FF01539A
	v_mul_f32_dpp v8, v154, v8 row_newbcast:4 row_mask:0xf bank_mask:0xf// 000000008008: 0A1010FA FF01549A
	v_mul_f32_dpp v9, v154, v9 row_newbcast:5 row_mask:0xf bank_mask:0xf// 000000008010: 0A1212FA FF01559A
	v_mul_f32_dpp v10, v154, v10 row_newbcast:6 row_mask:0xf bank_mask:0xf// 000000008018: 0A1414FA FF01569A
	v_mul_f32_dpp v11, v154, v11 row_newbcast:7 row_mask:0xf bank_mask:0xf// 000000008020: 0A1616FA FF01579A
	v_mul_f32_dpp v12, v154, v12 row_newbcast:8 row_mask:0xf bank_mask:0xf// 000000008028: 0A1818FA FF01589A
	v_mul_f32_dpp v13, v154, v13 row_newbcast:9 row_mask:0xf bank_mask:0xf// 000000008030: 0A1A1AFA FF01599A
	v_mul_f32_dpp v14, v154, v14 row_newbcast:10 row_mask:0xf bank_mask:0xf// 000000008038: 0A1C1CFA FF015A9A
	v_mul_f32_dpp v15, v154, v15 row_newbcast:11 row_mask:0xf bank_mask:0xf// 000000008040: 0A1E1EFA FF015B9A
	v_mul_f32_dpp v16, v154, v16 row_newbcast:12 row_mask:0xf bank_mask:0xf// 000000008048: 0A2020FA FF015C9A
	v_mul_f32_dpp v17, v154, v17 row_newbcast:13 row_mask:0xf bank_mask:0xf// 000000008050: 0A2222FA FF015D9A
	v_mul_f32_dpp v18, v154, v18 row_newbcast:14 row_mask:0xf bank_mask:0xf// 000000008058: 0A2424FA FF015E9A
	v_mul_f32_dpp v19, v154, v19 row_newbcast:15 row_mask:0xf bank_mask:0xf// 000000008060: 0A2626FA FF015F9A
	v_pk_mul_f32 v[20:21], v[150:151], v[20:21]                // 000000008068: D3B14014 18022996
	v_pk_mul_f32 v[22:23], v[150:151], v[22:23]                // 000000008070: D3B14016 18022D96
	v_pk_mul_f32 v[24:25], v[150:151], v[24:25]                // 000000008078: D3B14018 18023196
	v_pk_mul_f32 v[26:27], v[150:151], v[26:27]                // 000000008080: D3B1401A 18023596
	v_pk_mul_f32 v[28:29], v[150:151], v[28:29]                // 000000008088: D3B1401C 18023996
	v_pk_mul_f32 v[30:31], v[150:151], v[30:31]                // 000000008090: D3B1401E 18023D96
	v_pk_mul_f32 v[32:33], v[150:151], v[32:33]                // 000000008098: D3B14020 18024196
	v_pk_mul_f32 v[34:35], v[150:151], v[34:35]                // 0000000080A0: D3B14022 18024596
	v_mul_f32_dpp v20, v154, v20 row_newbcast:0 row_mask:0xf bank_mask:0xf// 0000000080A8: 0A2828FA FF01509A
	v_mul_f32_dpp v21, v154, v21 row_newbcast:1 row_mask:0xf bank_mask:0xf// 0000000080B0: 0A2A2AFA FF01519A
	v_mul_f32_dpp v22, v154, v22 row_newbcast:2 row_mask:0xf bank_mask:0xf// 0000000080B8: 0A2C2CFA FF01529A
	v_mul_f32_dpp v23, v154, v23 row_newbcast:3 row_mask:0xf bank_mask:0xf// 0000000080C0: 0A2E2EFA FF01539A
	v_mul_f32_dpp v24, v154, v24 row_newbcast:4 row_mask:0xf bank_mask:0xf// 0000000080C8: 0A3030FA FF01549A
	v_mul_f32_dpp v25, v154, v25 row_newbcast:5 row_mask:0xf bank_mask:0xf// 0000000080D0: 0A3232FA FF01559A
	v_mul_f32_dpp v26, v154, v26 row_newbcast:6 row_mask:0xf bank_mask:0xf// 0000000080D8: 0A3434FA FF01569A
	v_mul_f32_dpp v27, v154, v27 row_newbcast:7 row_mask:0xf bank_mask:0xf// 0000000080E0: 0A3636FA FF01579A
	v_mul_f32_dpp v28, v154, v28 row_newbcast:8 row_mask:0xf bank_mask:0xf// 0000000080E8: 0A3838FA FF01589A
	v_mul_f32_dpp v29, v154, v29 row_newbcast:9 row_mask:0xf bank_mask:0xf// 0000000080F0: 0A3A3AFA FF01599A
	v_mul_f32_dpp v30, v154, v30 row_newbcast:10 row_mask:0xf bank_mask:0xf// 0000000080F8: 0A3C3CFA FF015A9A
	v_mul_f32_dpp v31, v154, v31 row_newbcast:11 row_mask:0xf bank_mask:0xf// 000000008100: 0A3E3EFA FF015B9A
	v_mul_f32_dpp v32, v154, v32 row_newbcast:12 row_mask:0xf bank_mask:0xf// 000000008108: 0A4040FA FF015C9A
	v_mul_f32_dpp v33, v154, v33 row_newbcast:13 row_mask:0xf bank_mask:0xf// 000000008110: 0A4242FA FF015D9A
	v_mul_f32_dpp v34, v154, v34 row_newbcast:14 row_mask:0xf bank_mask:0xf// 000000008118: 0A4444FA FF015E9A
	v_mul_f32_dpp v35, v154, v35 row_newbcast:15 row_mask:0xf bank_mask:0xf// 000000008120: 0A4646FA FF015F9A
	v_pk_mul_f32 v[36:37], v[152:153], v[36:37]                // 000000008128: D3B14024 18024998
	v_pk_mul_f32 v[38:39], v[152:153], v[38:39]                // 000000008130: D3B14026 18024D98
	v_pk_mul_f32 v[40:41], v[152:153], v[40:41]                // 000000008138: D3B14028 18025198
	v_pk_mul_f32 v[42:43], v[152:153], v[42:43]                // 000000008140: D3B1402A 18025598
	v_mul_f32_dpp v36, v164, v36 quad_perm:[0,0,0,0] row_mask:0xf bank_mask:0xf// 000000008148: 0A4848FA FF0000A4
	v_mul_f32_dpp v37, v164, v37 quad_perm:[1,1,1,1] row_mask:0xf bank_mask:0xf// 000000008150: 0A4A4AFA FF0055A4
	v_mul_f32_dpp v38, v164, v38 quad_perm:[2,2,2,2] row_mask:0xf bank_mask:0xf// 000000008158: 0A4C4CFA FF00AAA4
	v_mul_f32_dpp v39, v164, v39 quad_perm:[3,3,3,3] row_mask:0xf bank_mask:0xf// 000000008160: 0A4E4EFA FF00FFA4
	v_mul_f32_dpp v40, v165, v40 quad_perm:[0,0,0,0] row_mask:0xf bank_mask:0xf// 000000008168: 0A5050FA FF0000A5
	v_mul_f32_dpp v41, v165, v41 quad_perm:[1,1,1,1] row_mask:0xf bank_mask:0xf// 000000008170: 0A5252FA FF0055A5
	v_mul_f32_dpp v42, v165, v42 quad_perm:[2,2,2,2] row_mask:0xf bank_mask:0xf// 000000008178: 0A5454FA FF00AAA5
	v_mul_f32_dpp v43, v165, v43 quad_perm:[3,3,3,3] row_mask:0xf bank_mask:0xf// 000000008180: 0A5656FA FF00FFA5
	v_mov_b32_e32 v190, v36                                    // 000000008188: 7F7C0324
	v_max3_f32 v190, v36, v37, v190                            // 00000000818C: D1D300BE 06FA4B24
	v_max3_f32 v190, v38, v39, v190                            // 000000008194: D1D300BE 06FA4F26
	v_max3_f32 v190, v40, v41, v190                            // 00000000819C: D1D300BE 06FA5328
	v_max3_f32 v190, v42, v43, v190                            // 0000000081A4: D1D300BE 06FA572A
	v_mov_b32_e32 v189, v20                                    // 0000000081AC: 7F7A0314
	v_max3_f32 v189, v20, v21, v189                            // 0000000081B0: D1D300BD 06F62B14
	v_max3_f32 v189, v22, v23, v189                            // 0000000081B8: D1D300BD 06F62F16
	v_max3_f32 v189, v24, v25, v189                            // 0000000081C0: D1D300BD 06F63318
	v_max3_f32 v189, v26, v27, v189                            // 0000000081C8: D1D300BD 06F6371A
	v_max3_f32 v189, v28, v29, v189                            // 0000000081D0: D1D300BD 06F63B1C
	v_max3_f32 v189, v30, v31, v189                            // 0000000081D8: D1D300BD 06F63F1E
	v_max3_f32 v189, v32, v33, v189                            // 0000000081E0: D1D300BD 06F64320
	v_max3_f32 v189, v34, v35, v189                            // 0000000081E8: D1D300BD 06F64722
	v_mov_b32_e32 v188, v4                                     // 0000000081F0: 7F780304
	v_max3_f32 v188, v4, v5, v188                              // 0000000081F4: D1D300BC 06F20B04
	v_max3_f32 v188, v6, v7, v188                              // 0000000081FC: D1D300BC 06F20F06
	v_max3_f32 v188, v8, v9, v188                              // 000000008204: D1D300BC 06F21308
	v_max3_f32 v188, v10, v11, v188                            // 00000000820C: D1D300BC 06F2170A
	v_max3_f32 v188, v12, v13, v188                            // 000000008214: D1D300BC 06F21B0C
	v_max3_f32 v188, v14, v15, v188                            // 00000000821C: D1D300BC 06F21F0E
	v_max3_f32 v188, v16, v17, v188                            // 000000008224: D1D300BC 06F22310
	v_max3_f32 v188, v18, v19, v188                            // 00000000822C: D1D300BC 06F22712
	v_max_f32_dpp v190, v190, v190 row_ror:8 row_mask:0xf bank_mask:0xf// 000000008234: 177D7CFA FF0128BE
	v_pk_mul_f32 v[124:125], v[200:201], v[124:125]            // 00000000823C: D3B1407C 1802F9C8
	v_pk_mul_f32 v[126:127], v[200:201], v[126:127]            // 000000008244: D3B1407E 1802FDC8
	v_pk_mul_f32 v[128:129], v[200:201], v[128:129]            // 00000000824C: D3B14080 180301C8
	v_pk_mul_f32 v[130:131], v[200:201], v[130:131]            // 000000008254: D3B14082 180305C8
	v_pk_mul_f32 v[132:133], v[202:203], v[132:133]            // 00000000825C: D3B14084 180309CA
	v_pk_mul_f32 v[134:135], v[202:203], v[134:135]            // 000000008264: D3B14086 18030DCA
	v_pk_mul_f32 v[136:137], v[202:203], v[136:137]            // 00000000826C: D3B14088 180311CA
	v_pk_mul_f32 v[138:139], v[202:203], v[138:139]            // 000000008274: D3B1408A 180315CA
	v_pk_mul_f32 v[140:141], v[204:205], v[140:141]            // 00000000827C: D3B1408C 180319CC
	v_pk_mul_f32 v[142:143], v[204:205], v[142:143]            // 000000008284: D3B1408E 18031DCC
	v_pk_mul_f32 v[144:145], v[204:205], v[144:145]            // 00000000828C: D3B14090 180321CC
	v_pk_mul_f32 v[146:147], v[204:205], v[146:147]            // 000000008294: D3B14092 180325CC
	ds_bpermute_b32 v172, v212, v188                           // 00000000829C: D87E0000 AC00BCD4
	ds_bpermute_b32 v173, v213, v188                           // 0000000082A4: D87E0000 AD00BCD5
	ds_bpermute_b32 v174, v214, v188                           // 0000000082AC: D87E0000 AE00BCD6
	ds_bpermute_b32 v175, v212, v189                           // 0000000082B4: D87E0000 AF00BDD4
	ds_bpermute_b32 v176, v213, v189                           // 0000000082BC: D87E0000 B000BDD5
	ds_bpermute_b32 v177, v214, v189                           // 0000000082C4: D87E0000 B100BDD6
	ds_bpermute_b32 v178, v212, v190                           // 0000000082CC: D87E0000 B200BED4
	ds_bpermute_b32 v179, v213, v190                           // 0000000082D4: D87E0000 B300BED5
	ds_bpermute_b32 v180, v214, v190                           // 0000000082DC: D87E0000 B400BED6
	s_waitcnt lgkmcnt(6)                                       // 0000000082E4: BF8CC67F
	v_max3_f32 v188, v172, v173, v188                          // 0000000082E8: D1D300BC 06F35BAC
	v_max_f32_e32 v188, v174, v188                             // 0000000082F0: 177979AE
	s_waitcnt lgkmcnt(3)                                       // 0000000082F4: BF8CC37F
	v_max3_f32 v189, v175, v176, v189                          // 0000000082F8: D1D300BD 06F761AF
	v_max_f32_e32 v189, v177, v189                             // 000000008300: 177B7BB1
	s_waitcnt lgkmcnt(0)                                       // 000000008304: BF8CC07F
	v_max3_f32 v190, v178, v179, v190                          // 000000008308: D1D300BE 06FB67B2
	v_max_f32_e32 v190, v180, v190                             // 000000008310: 177D7DB4
	ds_write_b128 v252, v[188:191]                             // 000000008314: D9BE0000 0000BCFC
	s_waitcnt lgkmcnt(0)                                       // 00000000831C: BF8CC07F
	s_barrier                                                  // 000000008320: BF8A0000
	v_pk_mul_f32 v[100:101], v[158:159], v[100:101]            // 000000008324: D3B14064 1802C99E
	v_pk_mul_f32 v[102:103], v[158:159], v[102:103]            // 00000000832C: D3B14066 1802CD9E
	v_pk_mul_f32 v[104:105], v[158:159], v[104:105]            // 000000008334: D3B14068 1802D19E
	v_pk_mul_f32 v[106:107], v[158:159], v[106:107]            // 00000000833C: D3B1406A 1802D59E
	v_pk_mul_f32 v[108:109], v[160:161], v[108:109]            // 000000008344: D3B1406C 1802D9A0
	v_pk_mul_f32 v[110:111], v[160:161], v[110:111]            // 00000000834C: D3B1406E 1802DDA0
	v_pk_mul_f32 v[112:113], v[160:161], v[112:113]            // 000000008354: D3B14070 1802E1A0
	v_pk_mul_f32 v[114:115], v[160:161], v[114:115]            // 00000000835C: D3B14072 1802E5A0
	v_pk_mul_f32 v[116:117], v[162:163], v[116:117]            // 000000008364: D3B14074 1802E9A2
	v_pk_mul_f32 v[118:119], v[162:163], v[118:119]            // 00000000836C: D3B14076 1802EDA2
	v_pk_mul_f32 v[120:121], v[162:163], v[120:121]            // 000000008374: D3B14078 1802F1A2
	v_pk_mul_f32 v[122:123], v[162:163], v[122:123]            // 00000000837C: D3B1407A 1802F5A2
	ds_read_b128 v[172:175], v253                              // 000000008384: D9FE0000 AC0000FD
	ds_read_b128 v[176:179], v253 offset:256                   // 00000000838C: D9FE0100 B00000FD
	ds_read_b128 v[180:183], v253 offset:512                   // 000000008394: D9FE0200 B40000FD
	ds_read_b128 v[184:187], v253 offset:768                   // 00000000839C: D9FE0300 B80000FD
	s_waitcnt lgkmcnt(0)                                       // 0000000083A4: BF8CC07F
	v_max3_f32 v188, v172, v176, v188                          // 0000000083A8: D1D300BC 06F361AC
	v_max3_f32 v189, v173, v177, v189                          // 0000000083B0: D1D300BD 06F763AD
	v_max3_f32 v190, v174, v178, v190                          // 0000000083B8: D1D300BE 06FB65AE
	v_max3_f32 v188, v180, v184, v188                          // 0000000083C0: D1D300BC 06F371B4
	v_max3_f32 v189, v181, v185, v189                          // 0000000083C8: D1D300BD 06F773B5
	v_max3_f32 v190, v182, v186, v190                          // 0000000083D0: D1D300BE 06FB75B6
	v_max_f32_e32 v197, v188, v194                             // 0000000083D8: 178B85BC
	v_mul_f32_e64 v168, -s46, v197                             // 0000000083DC: D10500A8 20038A2E
	v_mov_b32_e32 v169, v168                                   // 0000000083E4: 7F5203A8
	v_pk_fma_f32 v[4:5], v[4:5], s[46:47], v[168:169]          // 0000000083E8: D3B04004 1EA05D04
	v_pk_fma_f32 v[6:7], v[6:7], s[46:47], v[168:169]          // 0000000083F0: D3B04006 1EA05D06
	v_exp_f32_e32 v4, v4                                       // 0000000083F8: 7E084104
	v_exp_f32_e32 v5, v5                                       // 0000000083FC: 7E0A4105
	v_exp_f32_e32 v6, v6                                       // 000000008400: 7E0C4106
	v_exp_f32_e32 v7, v7                                       // 000000008404: 7E0E4107
	v_pk_fma_f32 v[8:9], v[8:9], s[46:47], v[168:169]          // 000000008408: D3B04008 1EA05D08
	v_pk_fma_f32 v[10:11], v[10:11], s[46:47], v[168:169]      // 000000008410: D3B0400A 1EA05D0A
	v_exp_f32_e32 v8, v8                                       // 000000008418: 7E104108
	v_exp_f32_e32 v9, v9                                       // 00000000841C: 7E124109
	v_exp_f32_e32 v10, v10                                     // 000000008420: 7E14410A
	v_exp_f32_e32 v11, v11                                     // 000000008424: 7E16410B
	v_pk_fma_f32 v[12:13], v[12:13], s[46:47], v[168:169]      // 000000008428: D3B0400C 1EA05D0C
	v_pk_fma_f32 v[14:15], v[14:15], s[46:47], v[168:169]      // 000000008430: D3B0400E 1EA05D0E
	v_exp_f32_e32 v12, v12                                     // 000000008438: 7E18410C
	v_exp_f32_e32 v13, v13                                     // 00000000843C: 7E1A410D
	v_exp_f32_e32 v14, v14                                     // 000000008440: 7E1C410E
	v_exp_f32_e32 v15, v15                                     // 000000008444: 7E1E410F
	v_pk_fma_f32 v[16:17], v[16:17], s[46:47], v[168:169]      // 000000008448: D3B04010 1EA05D10
	v_pk_fma_f32 v[18:19], v[18:19], s[46:47], v[168:169]      // 000000008450: D3B04012 1EA05D12
	v_exp_f32_e32 v16, v16                                     // 000000008458: 7E204110
	v_exp_f32_e32 v17, v17                                     // 00000000845C: 7E224111
	v_exp_f32_e32 v18, v18                                     // 000000008460: 7E244112
	v_exp_f32_e32 v19, v19                                     // 000000008464: 7E264113
	v_max_f32_e32 v198, v189, v195                             // 000000008468: 178D87BD
	v_mul_f32_e64 v168, -s46, v198                             // 00000000846C: D10500A8 20038C2E
	v_mov_b32_e32 v169, v168                                   // 000000008474: 7F5203A8
	v_pk_fma_f32 v[20:21], v[20:21], s[46:47], v[168:169]      // 000000008478: D3B04014 1EA05D14
	v_pk_fma_f32 v[22:23], v[22:23], s[46:47], v[168:169]      // 000000008480: D3B04016 1EA05D16
	v_exp_f32_e32 v20, v20                                     // 000000008488: 7E284114
	v_exp_f32_e32 v21, v21                                     // 00000000848C: 7E2A4115
	v_exp_f32_e32 v22, v22                                     // 000000008490: 7E2C4116
	v_exp_f32_e32 v23, v23                                     // 000000008494: 7E2E4117
	v_pk_fma_f32 v[24:25], v[24:25], s[46:47], v[168:169]      // 000000008498: D3B04018 1EA05D18
	v_pk_fma_f32 v[26:27], v[26:27], s[46:47], v[168:169]      // 0000000084A0: D3B0401A 1EA05D1A
	v_exp_f32_e32 v24, v24                                     // 0000000084A8: 7E304118
	v_exp_f32_e32 v25, v25                                     // 0000000084AC: 7E324119
	v_exp_f32_e32 v26, v26                                     // 0000000084B0: 7E34411A
	v_exp_f32_e32 v27, v27                                     // 0000000084B4: 7E36411B
	v_pk_fma_f32 v[28:29], v[28:29], s[46:47], v[168:169]      // 0000000084B8: D3B0401C 1EA05D1C
	v_pk_fma_f32 v[30:31], v[30:31], s[46:47], v[168:169]      // 0000000084C0: D3B0401E 1EA05D1E
	v_exp_f32_e32 v28, v28                                     // 0000000084C8: 7E38411C
	v_exp_f32_e32 v29, v29                                     // 0000000084CC: 7E3A411D
	v_exp_f32_e32 v30, v30                                     // 0000000084D0: 7E3C411E
	v_exp_f32_e32 v31, v31                                     // 0000000084D4: 7E3E411F
	v_pk_fma_f32 v[32:33], v[32:33], s[46:47], v[168:169]      // 0000000084D8: D3B04020 1EA05D20
	v_pk_fma_f32 v[34:35], v[34:35], s[46:47], v[168:169]      // 0000000084E0: D3B04022 1EA05D22
	v_exp_f32_e32 v32, v32                                     // 0000000084E8: 7E404120
	v_exp_f32_e32 v33, v33                                     // 0000000084EC: 7E424121
	v_exp_f32_e32 v34, v34                                     // 0000000084F0: 7E444122
	v_exp_f32_e32 v35, v35                                     // 0000000084F4: 7E464123
	v_max_f32_e32 v199, v190, v196                             // 0000000084F8: 178F89BE
	v_mul_f32_e64 v168, -s46, v199                             // 0000000084FC: D10500A8 20038E2E
	v_mov_b32_e32 v169, v168                                   // 000000008504: 7F5203A8
	v_pk_fma_f32 v[36:37], v[36:37], s[46:47], v[168:169]      // 000000008508: D3B04024 1EA05D24
	v_pk_fma_f32 v[38:39], v[38:39], s[46:47], v[168:169]      // 000000008510: D3B04026 1EA05D26
	v_exp_f32_e32 v36, v36                                     // 000000008518: 7E484124
	v_exp_f32_e32 v37, v37                                     // 00000000851C: 7E4A4125
	v_exp_f32_e32 v38, v38                                     // 000000008520: 7E4C4126
	v_exp_f32_e32 v39, v39                                     // 000000008524: 7E4E4127
	v_pk_fma_f32 v[40:41], v[40:41], s[46:47], v[168:169]      // 000000008528: D3B04028 1EA05D28
	v_pk_fma_f32 v[42:43], v[42:43], s[46:47], v[168:169]      // 000000008530: D3B0402A 1EA05D2A
	v_exp_f32_e32 v40, v40                                     // 000000008538: 7E504128
	v_exp_f32_e32 v41, v41                                     // 00000000853C: 7E524129
	v_exp_f32_e32 v42, v42                                     // 000000008540: 7E54412A
	v_exp_f32_e32 v43, v43                                     // 000000008544: 7E56412B
	v_mul_f32_dpp v52, v156, v4 row_newbcast:0 row_mask:0xf bank_mask:0xf// 000000008548: 0A6808FA FF01509C
	v_mul_f32_dpp v53, v156, v5 row_newbcast:1 row_mask:0xf bank_mask:0xf// 000000008550: 0A6A0AFA FF01519C
	v_mul_f32_dpp v54, v156, v6 row_newbcast:2 row_mask:0xf bank_mask:0xf// 000000008558: 0A6C0CFA FF01529C
	v_mul_f32_dpp v55, v156, v7 row_newbcast:3 row_mask:0xf bank_mask:0xf// 000000008560: 0A6E0EFA FF01539C
	v_mul_f32_dpp v56, v156, v8 row_newbcast:4 row_mask:0xf bank_mask:0xf// 000000008568: 0A7010FA FF01549C
	v_mul_f32_dpp v57, v156, v9 row_newbcast:5 row_mask:0xf bank_mask:0xf// 000000008570: 0A7212FA FF01559C
	v_mul_f32_dpp v58, v156, v10 row_newbcast:6 row_mask:0xf bank_mask:0xf// 000000008578: 0A7414FA FF01569C
	v_mul_f32_dpp v59, v156, v11 row_newbcast:7 row_mask:0xf bank_mask:0xf// 000000008580: 0A7616FA FF01579C
	v_mul_f32_dpp v60, v156, v12 row_newbcast:8 row_mask:0xf bank_mask:0xf// 000000008588: 0A7818FA FF01589C
	v_mul_f32_dpp v61, v156, v13 row_newbcast:9 row_mask:0xf bank_mask:0xf// 000000008590: 0A7A1AFA FF01599C
	v_mul_f32_dpp v62, v156, v14 row_newbcast:10 row_mask:0xf bank_mask:0xf// 000000008598: 0A7C1CFA FF015A9C
	v_mul_f32_dpp v63, v156, v15 row_newbcast:11 row_mask:0xf bank_mask:0xf// 0000000085A0: 0A7E1EFA FF015B9C
	v_mul_f32_dpp v64, v156, v16 row_newbcast:12 row_mask:0xf bank_mask:0xf// 0000000085A8: 0A8020FA FF015C9C
	v_mul_f32_dpp v65, v156, v17 row_newbcast:13 row_mask:0xf bank_mask:0xf// 0000000085B0: 0A8222FA FF015D9C
	v_mul_f32_dpp v66, v156, v18 row_newbcast:14 row_mask:0xf bank_mask:0xf// 0000000085B8: 0A8424FA FF015E9C
	v_mul_f32_dpp v67, v156, v19 row_newbcast:15 row_mask:0xf bank_mask:0xf// 0000000085C0: 0A8626FA FF015F9C
	v_mul_f32_dpp v68, v156, v20 row_newbcast:0 row_mask:0xf bank_mask:0xf// 0000000085C8: 0A8828FA FF01509C
	v_mul_f32_dpp v69, v156, v21 row_newbcast:1 row_mask:0xf bank_mask:0xf// 0000000085D0: 0A8A2AFA FF01519C
	v_mul_f32_dpp v70, v156, v22 row_newbcast:2 row_mask:0xf bank_mask:0xf// 0000000085D8: 0A8C2CFA FF01529C
	v_mul_f32_dpp v71, v156, v23 row_newbcast:3 row_mask:0xf bank_mask:0xf// 0000000085E0: 0A8E2EFA FF01539C
	v_mul_f32_dpp v72, v156, v24 row_newbcast:4 row_mask:0xf bank_mask:0xf// 0000000085E8: 0A9030FA FF01549C
	v_mul_f32_dpp v73, v156, v25 row_newbcast:5 row_mask:0xf bank_mask:0xf// 0000000085F0: 0A9232FA FF01559C
	v_mul_f32_dpp v74, v156, v26 row_newbcast:6 row_mask:0xf bank_mask:0xf// 0000000085F8: 0A9434FA FF01569C
	v_mul_f32_dpp v75, v156, v27 row_newbcast:7 row_mask:0xf bank_mask:0xf// 000000008600: 0A9636FA FF01579C
	v_mul_f32_dpp v76, v156, v28 row_newbcast:8 row_mask:0xf bank_mask:0xf// 000000008608: 0A9838FA FF01589C
	v_mul_f32_dpp v77, v156, v29 row_newbcast:9 row_mask:0xf bank_mask:0xf// 000000008610: 0A9A3AFA FF01599C
	v_mul_f32_dpp v78, v156, v30 row_newbcast:10 row_mask:0xf bank_mask:0xf// 000000008618: 0A9C3CFA FF015A9C
	v_mul_f32_dpp v79, v156, v31 row_newbcast:11 row_mask:0xf bank_mask:0xf// 000000008620: 0A9E3EFA FF015B9C
	v_mul_f32_dpp v80, v156, v32 row_newbcast:12 row_mask:0xf bank_mask:0xf// 000000008628: 0AA040FA FF015C9C
	v_mul_f32_dpp v81, v156, v33 row_newbcast:13 row_mask:0xf bank_mask:0xf// 000000008630: 0AA242FA FF015D9C
	v_mul_f32_dpp v82, v156, v34 row_newbcast:14 row_mask:0xf bank_mask:0xf// 000000008638: 0AA444FA FF015E9C
	v_mul_f32_dpp v83, v156, v35 row_newbcast:15 row_mask:0xf bank_mask:0xf// 000000008640: 0AA646FA FF015F9C
	v_mul_f32_dpp v84, v166, v36 quad_perm:[0,0,0,0] row_mask:0xf bank_mask:0xf// 000000008648: 0AA848FA FF0000A6
	v_mul_f32_dpp v85, v166, v37 quad_perm:[1,1,1,1] row_mask:0xf bank_mask:0xf// 000000008650: 0AAA4AFA FF0055A6
	v_mul_f32_dpp v86, v166, v38 quad_perm:[2,2,2,2] row_mask:0xf bank_mask:0xf// 000000008658: 0AAC4CFA FF00AAA6
	v_mul_f32_dpp v87, v166, v39 quad_perm:[3,3,3,3] row_mask:0xf bank_mask:0xf// 000000008660: 0AAE4EFA FF00FFA6
	v_mul_f32_dpp v88, v167, v40 quad_perm:[0,0,0,0] row_mask:0xf bank_mask:0xf// 000000008668: 0AB050FA FF0000A7
	v_mul_f32_dpp v89, v167, v41 quad_perm:[1,1,1,1] row_mask:0xf bank_mask:0xf// 000000008670: 0AB252FA FF0055A7
	v_mul_f32_dpp v90, v167, v42 quad_perm:[2,2,2,2] row_mask:0xf bank_mask:0xf// 000000008678: 0AB454FA FF00AAA7
	v_mul_f32_dpp v91, v167, v43 quad_perm:[3,3,3,3] row_mask:0xf bank_mask:0xf// 000000008680: 0AB656FA FF00FFA7
	v_mov_b32_e32 v190, 0x358637bd                             // 000000008688: 7F7C02FF 358637BD
	v_max3_f32 v190, |v84|, |v85|, v190                        // 000000008690: D1D303BE 06FAAB54
	v_max3_f32 v190, |v86|, |v87|, v190                        // 000000008698: D1D303BE 06FAAF56
	v_max3_f32 v190, |v88|, |v89|, v190                        // 0000000086A0: D1D303BE 06FAB358
	v_max3_f32 v190, |v90|, |v91|, v190                        // 0000000086A8: D1D303BE 06FAB75A
	v_mov_b32_e32 v189, 0x358637bd                             // 0000000086B0: 7F7A02FF 358637BD
	v_max3_f32 v189, |v68|, |v69|, v189                        // 0000000086B8: D1D303BD 06F68B44
	v_max3_f32 v189, |v70|, |v71|, v189                        // 0000000086C0: D1D303BD 06F68F46
	v_max3_f32 v189, |v72|, |v73|, v189                        // 0000000086C8: D1D303BD 06F69348
	v_max3_f32 v189, |v74|, |v75|, v189                        // 0000000086D0: D1D303BD 06F6974A
	v_max3_f32 v189, |v76|, |v77|, v189                        // 0000000086D8: D1D303BD 06F69B4C
	v_max3_f32 v189, |v78|, |v79|, v189                        // 0000000086E0: D1D303BD 06F69F4E
	v_max3_f32 v189, |v80|, |v81|, v189                        // 0000000086E8: D1D303BD 06F6A350
	v_max3_f32 v189, |v82|, |v83|, v189                        // 0000000086F0: D1D303BD 06F6A752
	v_mov_b32_e32 v188, 0x358637bd                             // 0000000086F8: 7F7802FF 358637BD
	v_max3_f32 v188, |v52|, |v53|, v188                        // 000000008700: D1D303BC 06F26B34
	v_max3_f32 v188, |v54|, |v55|, v188                        // 000000008708: D1D303BC 06F26F36
	v_max3_f32 v188, |v56|, |v57|, v188                        // 000000008710: D1D303BC 06F27338
	v_max3_f32 v188, |v58|, |v59|, v188                        // 000000008718: D1D303BC 06F2773A
	v_max3_f32 v188, |v60|, |v61|, v188                        // 000000008720: D1D303BC 06F27B3C
	v_max3_f32 v188, |v62|, |v63|, v188                        // 000000008728: D1D303BC 06F27F3E
	v_max3_f32 v188, |v64|, |v65|, v188                        // 000000008730: D1D303BC 06F28340
	v_max3_f32 v188, |v66|, |v67|, v188                        // 000000008738: D1D303BC 06F28742
	v_max_f32_dpp v190, v190, v190 row_ror:8 row_mask:0xf bank_mask:0xf// 000000008740: 177D7CFA FF0128BE
	ds_bpermute_b32 v172, v212, v188                           // 000000008748: D87E0000 AC00BCD4
	ds_bpermute_b32 v173, v213, v188                           // 000000008750: D87E0000 AD00BCD5
	ds_bpermute_b32 v174, v214, v188                           // 000000008758: D87E0000 AE00BCD6
	ds_bpermute_b32 v175, v212, v189                           // 000000008760: D87E0000 AF00BDD4
	ds_bpermute_b32 v176, v213, v189                           // 000000008768: D87E0000 B000BDD5
	ds_bpermute_b32 v177, v214, v189                           // 000000008770: D87E0000 B100BDD6
	ds_bpermute_b32 v178, v212, v190                           // 000000008778: D87E0000 B200BED4
	ds_bpermute_b32 v179, v213, v190                           // 000000008780: D87E0000 B300BED5
	ds_bpermute_b32 v180, v214, v190                           // 000000008788: D87E0000 B400BED6
	s_waitcnt lgkmcnt(6)                                       // 000000008790: BF8CC67F
	v_max3_f32 v188, v172, v173, v188                          // 000000008794: D1D300BC 06F35BAC
	v_max_f32_e32 v188, v174, v188                             // 00000000879C: 177979AE
	s_waitcnt lgkmcnt(3)                                       // 0000000087A0: BF8CC37F
	v_max3_f32 v189, v175, v176, v189                          // 0000000087A4: D1D300BD 06F761AF
	v_max_f32_e32 v189, v177, v189                             // 0000000087AC: 177B7BB1
	s_waitcnt lgkmcnt(0)                                       // 0000000087B0: BF8CC07F
	v_max3_f32 v190, v178, v179, v190                          // 0000000087B4: D1D300BE 06FB67B2
	v_max_f32_e32 v190, v180, v190                             // 0000000087BC: 177D7DB4
	ds_write_b128 v252, v[188:191] offset:4096                 // 0000000087C0: D9BE1000 0000BCFC
	buffer_load_dword v155, v238, s[20:23], 0 offen            // 0000000087C8: E0501000 80059BEE
	v_sub_f32_e32 v200, v194, v197                             // 0000000087D0: 05918BC2
	v_cmp_eq_u32_e64 s[98:99], v225, v194                      // 0000000087D4: D0CA0062 000385E1
	v_cndmask_b32_e64 v200, v200, 0, s[98:99]                  // 0000000087DC: D10000C8 018901C8
	v_mov_b32_e32 v194, v197                                   // 0000000087E4: 7F8403C5
	v_mul_f32_e32 v200, s46, v200                              // 0000000087E8: 0B91902E
	v_exp_f32_e32 v200, v200                                   // 0000000087EC: 7F9041C8
	v_sub_f32_e32 v202, v195, v198                             // 0000000087F0: 05958DC3
	v_cmp_eq_u32_e64 s[98:99], v225, v195                      // 0000000087F4: D0CA0062 000387E1
	v_cndmask_b32_e64 v202, v202, 0, s[98:99]                  // 0000000087FC: D10000CA 018901CA
	v_mov_b32_e32 v195, v198                                   // 000000008804: 7F8603C6
	v_mul_f32_e32 v202, s46, v202                              // 000000008808: 0B95942E
	v_exp_f32_e32 v202, v202                                   // 00000000880C: 7F9441CA
	v_sub_f32_e32 v204, v196, v199                             // 000000008810: 05998FC4
	v_cmp_eq_u32_e64 s[98:99], v225, v196                      // 000000008814: D0CA0062 000389E1
	v_cndmask_b32_e64 v204, v204, 0, s[98:99]                  // 00000000881C: D10000CC 018901CC
	v_mov_b32_e32 v196, v199                                   // 000000008824: 7F8803C7
	v_mul_f32_e32 v204, s46, v204                              // 000000008828: 0B99982E
	v_exp_f32_e32 v204, v204                                   // 00000000882C: 7F9841CC
	v_mov_b32_e32 v201, v200                                   // 000000008830: 7F9203C8
	v_mov_b32_e32 v203, v202                                   // 000000008834: 7F9603CA
	v_mov_b32_e32 v205, v204                                   // 000000008838: 7F9A03CC
	s_waitcnt lgkmcnt(0)                                       // 00000000883C: BF8CC07F
	s_barrier                                                  // 000000008840: BF8A0000
	buffer_load_dword v157, v239, s[24:27], 0 offen            // 000000008844: E0501000 80069DEF
	v_mul_f32_e32 v206, v200, v206                             // 00000000884C: 0B9D9DC8
	v_mov_b32_e32 v207, 0                                      // 000000008850: 7F9E0280
	v_pk_add_f32 v[206:207], v[4:5], v[206:207]                // 000000008854: D3B240CE 18039D04
	v_pk_add_f32 v[206:207], v[6:7], v[206:207]                // 00000000885C: D3B240CE 18039D06
	v_pk_add_f32 v[206:207], v[8:9], v[206:207]                // 000000008864: D3B240CE 18039D08
	v_pk_add_f32 v[206:207], v[10:11], v[206:207]              // 00000000886C: D3B240CE 18039D0A
	v_pk_add_f32 v[206:207], v[12:13], v[206:207]              // 000000008874: D3B240CE 18039D0C
	v_pk_add_f32 v[206:207], v[14:15], v[206:207]              // 00000000887C: D3B240CE 18039D0E
	v_pk_add_f32 v[206:207], v[16:17], v[206:207]              // 000000008884: D3B240CE 18039D10
	v_pk_add_f32 v[206:207], v[18:19], v[206:207]              // 00000000888C: D3B240CE 18039D12
	v_add_f32_e32 v206, v207, v206                             // 000000008894: 039D9DCF
	v_mul_f32_e32 v208, v202, v208                             // 000000008898: 0BA1A1CA
	v_mov_b32_e32 v209, 0                                      // 00000000889C: 7FA20280
	v_pk_add_f32 v[208:209], v[20:21], v[208:209]              // 0000000088A0: D3B240D0 1803A114
	v_pk_add_f32 v[208:209], v[22:23], v[208:209]              // 0000000088A8: D3B240D0 1803A116
	v_pk_add_f32 v[208:209], v[24:25], v[208:209]              // 0000000088B0: D3B240D0 1803A118
	v_pk_add_f32 v[208:209], v[26:27], v[208:209]              // 0000000088B8: D3B240D0 1803A11A
	v_pk_add_f32 v[208:209], v[28:29], v[208:209]              // 0000000088C0: D3B240D0 1803A11C
	v_pk_add_f32 v[208:209], v[30:31], v[208:209]              // 0000000088C8: D3B240D0 1803A11E
	v_pk_add_f32 v[208:209], v[32:33], v[208:209]              // 0000000088D0: D3B240D0 1803A120
	v_pk_add_f32 v[208:209], v[34:35], v[208:209]              // 0000000088D8: D3B240D0 1803A122
	v_add_f32_e32 v208, v209, v208                             // 0000000088E0: 03A1A1D1
	v_mul_f32_e32 v210, v204, v210                             // 0000000088E4: 0BA5A5CC
	v_mov_b32_e32 v211, 0                                      // 0000000088E8: 7FA60280
	v_pk_add_f32 v[210:211], v[36:37], v[210:211]              // 0000000088EC: D3B240D2 1803A524
	v_pk_add_f32 v[210:211], v[38:39], v[210:211]              // 0000000088F4: D3B240D2 1803A526
	v_pk_add_f32 v[210:211], v[40:41], v[210:211]              // 0000000088FC: D3B240D2 1803A528
	v_pk_add_f32 v[210:211], v[42:43], v[210:211]              // 000000008904: D3B240D2 1803A52A
	v_add_f32_e32 v210, v211, v210                             // 00000000890C: 03A5A5D3
	ds_read_b128 v[172:175], v253 offset:4096                  // 000000008910: D9FE1000 AC0000FD
	ds_read_b128 v[176:179], v253 offset:4352                  // 000000008918: D9FE1100 B00000FD
	ds_read_b128 v[180:183], v253 offset:4608                  // 000000008920: D9FE1200 B40000FD
	ds_read_b128 v[184:187], v253 offset:4864                  // 000000008928: D9FE1300 B80000FD
	s_waitcnt lgkmcnt(0)                                       // 000000008930: BF8CC07F
	v_max3_f32 v188, v172, v176, v188                          // 000000008934: D1D300BC 06F361AC
	v_max3_f32 v189, v173, v177, v189                          // 00000000893C: D1D300BD 06F763AD
	v_max3_f32 v190, v174, v178, v190                          // 000000008944: D1D300BE 06FB65AE
	v_max3_f32 v188, v180, v184, v188                          // 00000000894C: D1D300BC 06F371B4
	v_max3_f32 v189, v181, v185, v189                          // 000000008954: D1D300BD 06F773B5
	v_max3_f32 v190, v182, v186, v190                          // 00000000895C: D1D300BE 06FB75B6
	v_rcp_f32_e32 v188, v188                                   // 000000008964: 7F7845BC
	v_rcp_f32_e32 v189, v189                                   // 000000008968: 7F7A45BD
	v_rcp_f32_e32 v190, v190                                   // 00000000896C: 7F7C45BE
	v_mul_f32_e32 v188, 0x43700000, v188                       // 000000008970: 0B7978FF 43700000
	v_mul_f32_e32 v189, 0x43700000, v189                       // 000000008978: 0B7B7AFF 43700000
	v_mul_f32_e32 v190, 0x43700000, v190                       // 000000008980: 0B7D7CFF 43700000
	v_mov_b32_e32 v192, v190                                   // 000000008988: 7F8003BE
	v_mov_b32_e32 v193, v190                                   // 00000000898C: 7F8203BE
	v_mov_b32_e32 v190, v189                                   // 000000008990: 7F7C03BD
	v_mov_b32_e32 v191, v189                                   // 000000008994: 7F7E03BD
	v_mov_b32_e32 v189, v188                                   // 000000008998: 7F7A03BC
	v_pk_mul_f32 v[4:5], v[188:189], v[52:53]                  // 00000000899C: D3B14004 180269BC
	v_pk_mul_f32 v[6:7], v[188:189], v[54:55]                  // 0000000089A4: D3B14006 18026DBC
	v_pk_mul_f32 v[8:9], v[188:189], v[56:57]                  // 0000000089AC: D3B14008 180271BC
	v_pk_mul_f32 v[10:11], v[188:189], v[58:59]                // 0000000089B4: D3B1400A 180275BC
	v_pk_mul_f32 v[12:13], v[188:189], v[60:61]                // 0000000089BC: D3B1400C 180279BC
	v_pk_mul_f32 v[14:15], v[188:189], v[62:63]                // 0000000089C4: D3B1400E 18027DBC
	v_pk_mul_f32 v[16:17], v[188:189], v[64:65]                // 0000000089CC: D3B14010 180281BC
	v_pk_mul_f32 v[18:19], v[188:189], v[66:67]                // 0000000089D4: D3B14012 180285BC
	v_pk_mul_f32 v[20:21], v[190:191], v[68:69]                // 0000000089DC: D3B14014 180289BE
	v_pk_mul_f32 v[22:23], v[190:191], v[70:71]                // 0000000089E4: D3B14016 18028DBE
	v_pk_mul_f32 v[24:25], v[190:191], v[72:73]                // 0000000089EC: D3B14018 180291BE
	v_pk_mul_f32 v[26:27], v[190:191], v[74:75]                // 0000000089F4: D3B1401A 180295BE
	v_pk_mul_f32 v[28:29], v[190:191], v[76:77]                // 0000000089FC: D3B1401C 180299BE
	v_pk_mul_f32 v[30:31], v[190:191], v[78:79]                // 000000008A04: D3B1401E 18029DBE
	v_pk_mul_f32 v[32:33], v[190:191], v[80:81]                // 000000008A0C: D3B14020 1802A1BE
	v_pk_mul_f32 v[34:35], v[190:191], v[82:83]                // 000000008A14: D3B14022 1802A5BE
	v_pk_mul_f32 v[36:37], v[192:193], v[84:85]                // 000000008A1C: D3B14024 1802A9C0
	v_pk_mul_f32 v[38:39], v[192:193], v[86:87]                // 000000008A24: D3B14026 1802ADC0
	v_pk_mul_f32 v[40:41], v[192:193], v[88:89]                // 000000008A2C: D3B14028 1802B1C0
	v_pk_mul_f32 v[42:43], v[192:193], v[90:91]                // 000000008A34: D3B1402A 1802B5C0
	v_cvt_pk_fp8_f32 v4, v4, v5                                // 000000008A3C: D2A20004 00020B04
	v_cvt_pk_fp8_f32 v4, v6, v7 op_sel:[0,0,1]                 // 000000008A44: D2A24004 00020F06
	v_cvt_pk_fp8_f32 v5, v8, v9                                // 000000008A4C: D2A20005 00021308
	v_cvt_pk_fp8_f32 v5, v10, v11 op_sel:[0,0,1]               // 000000008A54: D2A24005 0002170A
	v_cvt_pk_fp8_f32 v6, v12, v13                              // 000000008A5C: D2A20006 00021B0C
	v_cvt_pk_fp8_f32 v6, v14, v15 op_sel:[0,0,1]               // 000000008A64: D2A24006 00021F0E
	v_cvt_pk_fp8_f32 v7, v16, v17                              // 000000008A6C: D2A20007 00022310
	v_cvt_pk_fp8_f32 v7, v18, v19 op_sel:[0,0,1]               // 000000008A74: D2A24007 00022712
	v_cvt_pk_fp8_f32 v8, v20, v21                              // 000000008A7C: D2A20008 00022B14
	v_cvt_pk_fp8_f32 v8, v22, v23 op_sel:[0,0,1]               // 000000008A84: D2A24008 00022F16
	v_cvt_pk_fp8_f32 v9, v24, v25                              // 000000008A8C: D2A20009 00023318
	v_cvt_pk_fp8_f32 v9, v26, v27 op_sel:[0,0,1]               // 000000008A94: D2A24009 0002371A
	v_cvt_pk_fp8_f32 v10, v28, v29                             // 000000008A9C: D2A2000A 00023B1C
	v_cvt_pk_fp8_f32 v10, v30, v31 op_sel:[0,0,1]              // 000000008AA4: D2A2400A 00023F1E
	v_cvt_pk_fp8_f32 v11, v32, v33                             // 000000008AAC: D2A2000B 00024320
	v_cvt_pk_fp8_f32 v11, v34, v35 op_sel:[0,0,1]              // 000000008AB4: D2A2400B 00024722
	v_cvt_pk_fp8_f32 v12, v36, v37                             // 000000008ABC: D2A2000C 00024B24
	v_cvt_pk_fp8_f32 v12, v38, v39 op_sel:[0,0,1]              // 000000008AC4: D2A2400C 00024F26
	v_cvt_pk_fp8_f32 v13, v40, v41                             // 000000008ACC: D2A2000D 00025328
	v_cvt_pk_fp8_f32 v13, v42, v43 op_sel:[0,0,1]              // 000000008AD4: D2A2400D 0002572A
	v_mov_b32_dpp v14, v12 row_shl:8 row_mask:0xf bank_mask:0xf bound_ctrl:1// 000000008ADC: 7E1C02FA FF09080C
	v_and_b32_e32 v12, v12, v224                               // 000000008AE4: 2619C10C
	v_mov_b32_dpp v15, v13 row_shl:8 row_mask:0xf bank_mask:0xf bound_ctrl:1// 000000008AE8: 7E1E02FA FF09080D
	v_and_b32_e32 v13, v13, v224                               // 000000008AF0: 261BC10D
	ds_write_b32 v254, v4 offset:8192                          // 000000008AF4: D81A2000 000004FE
	ds_write_b32 v254, v5 offset:9216                          // 000000008AFC: D81A2400 000005FE
	ds_write_b32 v254, v6 offset:10240                         // 000000008B04: D81A2800 000006FE
	ds_write_b32 v254, v7 offset:11264                         // 000000008B0C: D81A2C00 000007FE
	ds_write_b32 v254, v8 offset:12288                         // 000000008B14: D81A3000 000008FE
	ds_write_b32 v254, v9 offset:13312                         // 000000008B1C: D81A3400 000009FE
	ds_write_b32 v254, v10 offset:14336                        // 000000008B24: D81A3800 00000AFE
	ds_write_b32 v254, v11 offset:15360                        // 000000008B2C: D81A3C00 00000BFE
	ds_write_b32 v254, v12 offset:16384                        // 000000008B34: D81A4000 00000CFE
	ds_write_b32 v254, v13 offset:17408                        // 000000008B3C: D81A4400 00000DFE
	ds_write_b32 v254, v14 offset:18432                        // 000000008B44: D81A4800 00000EFE
	ds_write_b32 v254, v15 offset:19456                        // 000000008B4C: D81A4C00 00000FFE
	v_rcp_f32_e32 v158, v188                                   // 000000008B54: 7F3C45BC
	v_rcp_f32_e32 v160, v190                                   // 000000008B58: 7F4045BE
	v_rcp_f32_e32 v162, v192                                   // 000000008B5C: 7F4445C0
	v_mov_b32_e32 v159, v158                                   // 000000008B60: 7F3E039E
	v_mov_b32_e32 v161, v160                                   // 000000008B64: 7F4203A0
	v_mov_b32_e32 v163, v162                                   // 000000008B68: 7F4603A2
	v_pk_add_f32 v[124:125], v[124:125], v[100:101]            // 000000008B6C: D3B2407C 1802C97C
	v_pk_add_f32 v[126:127], v[126:127], v[102:103]            // 000000008B74: D3B2407E 1802CD7E
	v_pk_add_f32 v[128:129], v[128:129], v[104:105]            // 000000008B7C: D3B24080 1802D180
	v_pk_add_f32 v[130:131], v[130:131], v[106:107]            // 000000008B84: D3B24082 1802D582
	v_pk_add_f32 v[132:133], v[132:133], v[108:109]            // 000000008B8C: D3B24084 1802D984
	v_pk_add_f32 v[134:135], v[134:135], v[110:111]            // 000000008B94: D3B24086 1802DD86
	v_pk_add_f32 v[136:137], v[136:137], v[112:113]            // 000000008B9C: D3B24088 1802E188
	v_pk_add_f32 v[138:139], v[138:139], v[114:115]            // 000000008BA4: D3B2408A 1802E58A
	v_pk_add_f32 v[140:141], v[140:141], v[116:117]            // 000000008BAC: D3B2408C 1802E98C
	v_pk_add_f32 v[142:143], v[142:143], v[118:119]            // 000000008BB4: D3B2408E 1802ED8E
	v_pk_add_f32 v[144:145], v[144:145], v[120:121]            // 000000008BBC: D3B24090 1802F190
	v_pk_add_f32 v[146:147], v[146:147], v[122:123]            // 000000008BC4: D3B24092 1802F592
	s_waitcnt lgkmcnt(0)                                       // 000000008BCC: BF8CC07F
	s_barrier                                                  // 000000008BD0: BF8A0000
	ds_read_b128 v[4:7], v255 offset:8192                      // 000000008BD4: D9FE2000 040000FF
	ds_read_b128 v[8:11], v255 offset:9216                     // 000000008BDC: D9FE2400 080000FF
	ds_read_b128 v[12:15], v255 offset:10240                   // 000000008BE4: D9FE2800 0C0000FF
	ds_read_b128 v[16:19], v255 offset:11264                   // 000000008BEC: D9FE2C00 100000FF
	ds_read_b128 v[20:23], v255 offset:12288                   // 000000008BF4: D9FE3000 140000FF
	ds_read_b128 v[24:27], v255 offset:13312                   // 000000008BFC: D9FE3400 180000FF
	ds_read_b128 v[28:31], v255 offset:14336                   // 000000008C04: D9FE3800 1C0000FF
	ds_read_b128 v[32:35], v255 offset:15360                   // 000000008C0C: D9FE3C00 200000FF
	ds_read_b128 v[36:39], v255 offset:16384                   // 000000008C14: D9FE4000 240000FF
	ds_read_b128 v[40:43], v255 offset:17408                   // 000000008C1C: D9FE4400 280000FF
	ds_read_b128 v[44:47], v255 offset:18432                   // 000000008C24: D9FE4800 2C0000FF
	ds_read_b128 v[48:51], v255 offset:19456                   // 000000008C2C: D9FE4C00 300000FF
	s_waitcnt vmcnt(10)                                        // 000000008C34: BF8C0F7A
	s_waitcnt lgkmcnt(11)                                      // 000000008C38: BF8CCB7F
	v_mfma_f32_16x16x32_fp8_fp8 v[100:103], a[88:89], v[4:5], 0// 000000008C3C: D3F30064 0A020958
	s_lshl_b32 s68, s76, 2                                     // 000000008C44: 8E44824C
	v_mfma_f32_16x16x32_fp8_fp8 v[104:107], a[104:105], v[4:5], 0// 000000008C48: D3F30068 0A020968
	s_cmp_lt_u32 s76, s77                                      // 000000008C50: BF0A4D4C
	s_cselect_b32 s68, s68, 0                                  // 000000008C54: 85448044
	v_mfma_f32_16x16x32_fp8_fp8 v[100:103], a[90:91], v[6:7], v[100:103]// 000000008C58: D3F30064 0D920D5A
	buffer_load_dwordx4 a[120:123], v234, s[16:19], 0 offen    // 000000008C60: E05C1000 808478EA
	v_mfma_f32_16x16x32_fp8_fp8 v[104:107], a[106:107], v[6:7], v[104:107]// 000000008C68: D3F30068 0DA20D6A
	s_addk_i32 s76, 0x1                                        // 000000008C70: B74C0001
	s_waitcnt lgkmcnt(10)                                      // 000000008C74: BF8CCA7F
	v_mfma_f32_16x16x32_fp8_fp8 v[100:103], a[92:93], v[8:9], v[100:103]// 000000008C78: D3F30064 0D92115C
	v_mfma_f32_16x16x32_fp8_fp8 v[104:107], a[108:109], v[8:9], v[104:107]// 000000008C80: D3F30068 0DA2116C
	v_mfma_f32_16x16x32_fp8_fp8 v[100:103], a[94:95], v[10:11], v[100:103]// 000000008C88: D3F30064 0D92155E
	buffer_load_dwordx4 a[124:127], v235, s[16:19], 0 offen    // 000000008C90: E05C1000 80847CEB
	v_mfma_f32_16x16x32_fp8_fp8 v[104:107], a[110:111], v[10:11], v[104:107]// 000000008C98: D3F30068 0DA2156E
	s_waitcnt lgkmcnt(9)                                       // 000000008CA0: BF8CC97F
	v_mfma_f32_16x16x32_fp8_fp8 v[100:103], a[96:97], v[12:13], v[100:103]// 000000008CA4: D3F30064 0D921960
	v_mfma_f32_16x16x32_fp8_fp8 v[104:107], a[112:113], v[12:13], v[104:107]// 000000008CAC: D3F30068 0DA21970
	v_mfma_f32_16x16x32_fp8_fp8 v[100:103], a[98:99], v[14:15], v[100:103]// 000000008CB4: D3F30064 0D921D62
	buffer_load_dwordx4 a[128:131], v236, s[16:19], 0 offen    // 000000008CBC: E05C1000 808480EC
	v_mfma_f32_16x16x32_fp8_fp8 v[104:107], a[114:115], v[14:15], v[104:107]// 000000008CC4: D3F30068 0DA21D72
	s_waitcnt lgkmcnt(8)                                       // 000000008CCC: BF8CC87F
	v_mfma_f32_16x16x32_fp8_fp8 v[100:103], a[100:101], v[16:17], v[100:103]// 000000008CD0: D3F30064 0D922164
	v_mfma_f32_16x16x32_fp8_fp8 v[104:107], a[116:117], v[16:17], v[104:107]// 000000008CD8: D3F30068 0DA22174
	v_mfma_f32_16x16x32_fp8_fp8 v[100:103], a[102:103], v[18:19], v[100:103]// 000000008CE0: D3F30064 0D922566
	buffer_load_dwordx4 a[132:135], v237, s[16:19], 0 offen    // 000000008CE8: E05C1000 808484ED
	v_mfma_f32_16x16x32_fp8_fp8 v[104:107], a[118:119], v[18:19], v[104:107]// 000000008CF0: D3F30068 0DA22576
	s_waitcnt lgkmcnt(7)                                       // 000000008CF8: BF8CC77F
	v_mfma_f32_16x16x32_fp8_fp8 v[108:111], a[88:89], v[20:21], 0// 000000008CFC: D3F3006C 0A022958
	v_mfma_f32_16x16x32_fp8_fp8 v[112:115], a[104:105], v[20:21], 0// 000000008D04: D3F30070 0A022968
	v_mfma_f32_16x16x32_fp8_fp8 v[108:111], a[90:91], v[22:23], v[108:111]// 000000008D0C: D3F3006C 0DB22D5A
	buffer_load_dwordx4 a[136:139], v234, s[16:19], 0 offen offset:1024// 000000008D14: E05C1400 808488EA
	v_mfma_f32_16x16x32_fp8_fp8 v[112:115], a[106:107], v[22:23], v[112:115]// 000000008D1C: D3F30070 0DC22D6A
	s_waitcnt lgkmcnt(6)                                       // 000000008D24: BF8CC67F
	v_mfma_f32_16x16x32_fp8_fp8 v[108:111], a[92:93], v[24:25], v[108:111]// 000000008D28: D3F3006C 0DB2315C
	v_mfma_f32_16x16x32_fp8_fp8 v[112:115], a[108:109], v[24:25], v[112:115]// 000000008D30: D3F30070 0DC2316C
	v_mfma_f32_16x16x32_fp8_fp8 v[108:111], a[94:95], v[26:27], v[108:111]// 000000008D38: D3F3006C 0DB2355E
	buffer_load_dwordx4 a[140:143], v235, s[16:19], 0 offen offset:1024// 000000008D40: E05C1400 80848CEB
	v_mfma_f32_16x16x32_fp8_fp8 v[112:115], a[110:111], v[26:27], v[112:115]// 000000008D48: D3F30070 0DC2356E
	s_waitcnt lgkmcnt(5)                                       // 000000008D50: BF8CC57F
	v_mfma_f32_16x16x32_fp8_fp8 v[108:111], a[96:97], v[28:29], v[108:111]// 000000008D54: D3F3006C 0DB23960
	v_mfma_f32_16x16x32_fp8_fp8 v[112:115], a[112:113], v[28:29], v[112:115]// 000000008D5C: D3F30070 0DC23970
	v_mfma_f32_16x16x32_fp8_fp8 v[108:111], a[98:99], v[30:31], v[108:111]// 000000008D64: D3F3006C 0DB23D62
	buffer_load_dwordx4 a[144:147], v236, s[16:19], 0 offen offset:1024// 000000008D6C: E05C1400 808490EC
	v_mfma_f32_16x16x32_fp8_fp8 v[112:115], a[114:115], v[30:31], v[112:115]// 000000008D74: D3F30070 0DC23D72
	s_waitcnt lgkmcnt(4)                                       // 000000008D7C: BF8CC47F
	v_mfma_f32_16x16x32_fp8_fp8 v[108:111], a[100:101], v[32:33], v[108:111]// 000000008D80: D3F3006C 0DB24164
	v_mfma_f32_16x16x32_fp8_fp8 v[112:115], a[116:117], v[32:33], v[112:115]// 000000008D88: D3F30070 0DC24174
	v_mfma_f32_16x16x32_fp8_fp8 v[108:111], a[102:103], v[34:35], v[108:111]// 000000008D90: D3F3006C 0DB24566
	buffer_load_dwordx4 a[148:151], v237, s[16:19], 0 offen offset:1024// 000000008D98: E05C1400 808494ED
	v_mfma_f32_16x16x32_fp8_fp8 v[112:115], a[118:119], v[34:35], v[112:115]// 000000008DA0: D3F30070 0DC24576
	s_waitcnt lgkmcnt(3)                                       // 000000008DA8: BF8CC37F
	v_mfma_f32_16x16x32_fp8_fp8 v[116:119], a[88:89], v[36:37], 0// 000000008DAC: D3F30074 0A024958
	v_mfma_f32_16x16x32_fp8_fp8 v[120:123], a[104:105], v[36:37], 0// 000000008DB4: D3F30078 0A024968
	v_mfma_f32_16x16x32_fp8_fp8 v[116:119], a[90:91], v[38:39], v[116:119]// 000000008DBC: D3F30074 0DD24D5A
	v_mfma_f32_16x16x32_fp8_fp8 v[120:123], a[106:107], v[38:39], v[120:123]// 000000008DC4: D3F30078 0DE24D6A
	s_waitcnt lgkmcnt(2)                                       // 000000008DCC: BF8CC27F
	v_mfma_f32_16x16x32_fp8_fp8 v[116:119], a[92:93], v[40:41], v[116:119]// 000000008DD0: D3F30074 0DD2515C
	v_mfma_f32_16x16x32_fp8_fp8 v[120:123], a[108:109], v[40:41], v[120:123]// 000000008DD8: D3F30078 0DE2516C
	v_mfma_f32_16x16x32_fp8_fp8 v[116:119], a[94:95], v[42:43], v[116:119]// 000000008DE0: D3F30074 0DD2555E
	v_mfma_f32_16x16x32_fp8_fp8 v[120:123], a[110:111], v[42:43], v[120:123]// 000000008DE8: D3F30078 0DE2556E
	s_waitcnt lgkmcnt(1)                                       // 000000008DF0: BF8CC17F
	v_mfma_f32_16x16x32_fp8_fp8 v[116:119], a[96:97], v[44:45], v[116:119]// 000000008DF4: D3F30074 0DD25960
	v_mfma_f32_16x16x32_fp8_fp8 v[120:123], a[112:113], v[44:45], v[120:123]// 000000008DFC: D3F30078 0DE25970
	v_mfma_f32_16x16x32_fp8_fp8 v[116:119], a[98:99], v[46:47], v[116:119]// 000000008E04: D3F30074 0DD25D62
	v_mfma_f32_16x16x32_fp8_fp8 v[120:123], a[114:115], v[46:47], v[120:123]// 000000008E0C: D3F30078 0DE25D72
	s_waitcnt lgkmcnt(0)                                       // 000000008E14: BF8CC07F
	v_mfma_f32_16x16x32_fp8_fp8 v[116:119], a[100:101], v[48:49], v[116:119]// 000000008E18: D3F30074 0DD26164
	v_mfma_f32_16x16x32_fp8_fp8 v[120:123], a[116:117], v[48:49], v[120:123]// 000000008E20: D3F30078 0DE26174
	v_mfma_f32_16x16x32_fp8_fp8 v[116:119], a[102:103], v[50:51], v[116:119]// 000000008E28: D3F30074 0DD26566
	v_mfma_f32_16x16x32_fp8_fp8 v[120:123], a[118:119], v[50:51], v[120:123]// 000000008E30: D3F30078 0DE26576
	s_load_dword s59, s[42:43], s68                            // 000000008E38: C0000ED5 00000044
	s_addk_i32 s64, 0x100                                      // 000000008E40: B7400100
	s_cmp_lt_i32 s64, s63                                      // 000000008E44: BF043F40
	s_cbranch_scc0 label_2DCC                                  // 000000008E48: BF841439
	s_waitcnt vmcnt(10)                                        // 000000008E4C: BF8C0F7A
	v_mfma_f32_16x16x32_fp8_fp8 v[4:7], a[56:57], a[0:1], 0    // 000000008E50: D3F30004 1A020138
	s_add_u32 s12, s86, s69                                    // 000000008E58: 800C4556
	s_addc_u32 s13, s87, 0                                     // 000000008E5C: 820D8057
	v_mfma_f32_16x16x32_fp8_fp8 v[4:7], a[58:59], a[2:3], v[4:7]// 000000008E60: D3F30004 1C12053A
	s_add_u32 s16, s88, s70                                    // 000000008E68: 80104658
	s_addc_u32 s17, s89, 0                                     // 000000008E6C: 82118059
	v_mfma_f32_16x16x32_fp8_fp8 v[4:7], a[60:61], a[4:5], v[4:7]// 000000008E70: D3F30004 1C12093C
	buffer_load_dwordx4 a[24:27], v232, s[12:15], 0 offen      // 000000008E78: E05C1000 808318E8
	v_mfma_f32_16x16x32_fp8_fp8 v[4:7], a[62:63], a[6:7], v[4:7]// 000000008E80: D3F30004 1C120D3E
	s_add_u32 s20, s90, s71                                    // 000000008E88: 8014475A
	s_addc_u32 s21, s91, 0                                     // 000000008E8C: 8215805B
	v_mfma_f32_16x16x32_fp8_fp8 v[8:11], a[64:65], a[0:1], 0   // 000000008E90: D3F30008 1A020140
	s_add_u32 s24, s92, s71                                    // 000000008E98: 8018475C
	s_addc_u32 s25, s93, 0                                     // 000000008E9C: 8219805D
	v_mfma_f32_16x16x32_fp8_fp8 v[8:11], a[66:67], a[2:3], v[8:11]// 000000008EA0: D3F30008 1C220542
	s_add_u32 s69, s69, 0x1000                                 // 000000008EA8: 8045FF45 00001000
	s_add_u32 s70, s70, 0x8000                                 // 000000008EB0: 8046FF46 00008000
	v_mfma_f32_16x16x32_fp8_fp8 v[8:11], a[68:69], a[4:5], v[8:11]// 000000008EB8: D3F30008 1C220944
	buffer_load_dwordx4 a[28:31], v233, s[12:15], 0 offen      // 000000008EC0: E05C1000 80831CE9
	v_mfma_f32_16x16x32_fp8_fp8 v[8:11], a[70:71], a[6:7], v[8:11]// 000000008EC8: D3F30008 1C220D46
	s_add_u32 s71, s71, 0x400                                  // 000000008ED0: 8047FF47 00000400
	v_mfma_f32_16x16x32_fp8_fp8 v[12:15], a[72:73], a[0:1], 0  // 000000008ED8: D3F3000C 1A020148
	v_mfma_f32_16x16x32_fp8_fp8 v[12:15], a[74:75], a[2:3], v[12:15]// 000000008EE0: D3F3000C 1C32054A
	v_mfma_f32_16x16x32_fp8_fp8 v[12:15], a[76:77], a[4:5], v[12:15]// 000000008EE8: D3F3000C 1C32094C
	buffer_load_dwordx4 a[32:35], v232, s[12:15], 0 offen offset:1024// 000000008EF0: E05C1400 808320E8
	v_mfma_f32_16x16x32_fp8_fp8 v[12:15], a[78:79], a[6:7], v[12:15]// 000000008EF8: D3F3000C 1C320D4E
	v_mfma_f32_16x16x32_fp8_fp8 v[16:19], a[80:81], a[0:1], 0  // 000000008F00: D3F30010 1A020150
	v_mfma_f32_16x16x32_fp8_fp8 v[16:19], a[82:83], a[2:3], v[16:19]// 000000008F08: D3F30010 1C420552
	v_mfma_f32_16x16x32_fp8_fp8 v[16:19], a[84:85], a[4:5], v[16:19]// 000000008F10: D3F30010 1C420954
	buffer_load_dwordx4 a[36:39], v233, s[12:15], 0 offen offset:1024// 000000008F18: E05C1400 808324E9
	v_mfma_f32_16x16x32_fp8_fp8 v[16:19], a[86:87], a[6:7], v[16:19]// 000000008F20: D3F30010 1C420D56
	v_mfma_f32_16x16x32_fp8_fp8 v[20:23], a[56:57], a[8:9], 0  // 000000008F28: D3F30014 1A021138
	v_mfma_f32_16x16x32_fp8_fp8 v[20:23], a[58:59], a[10:11], v[20:23]// 000000008F30: D3F30014 1C52153A
	v_mfma_f32_16x16x32_fp8_fp8 v[20:23], a[60:61], a[12:13], v[20:23]// 000000008F38: D3F30014 1C52193C
	buffer_load_dwordx4 a[40:43], v232, s[12:15], 0 offen offset:2048// 000000008F40: E05C1800 808328E8
	v_mfma_f32_16x16x32_fp8_fp8 v[20:23], a[62:63], a[14:15], v[20:23]// 000000008F48: D3F30014 1C521D3E
	v_mfma_f32_16x16x32_fp8_fp8 v[24:27], a[64:65], a[8:9], 0  // 000000008F50: D3F30018 1A021140
	v_mfma_f32_16x16x32_fp8_fp8 v[24:27], a[66:67], a[10:11], v[24:27]// 000000008F58: D3F30018 1C621542
	v_mfma_f32_16x16x32_fp8_fp8 v[24:27], a[68:69], a[12:13], v[24:27]// 000000008F60: D3F30018 1C621944
	buffer_load_dwordx4 a[44:47], v233, s[12:15], 0 offen offset:2048// 000000008F68: E05C1800 80832CE9
	v_mfma_f32_16x16x32_fp8_fp8 v[24:27], a[70:71], a[14:15], v[24:27]// 000000008F70: D3F30018 1C621D46
	v_mfma_f32_16x16x32_fp8_fp8 v[28:31], a[72:73], a[8:9], 0  // 000000008F78: D3F3001C 1A021148
	v_mfma_f32_16x16x32_fp8_fp8 v[28:31], a[74:75], a[10:11], v[28:31]// 000000008F80: D3F3001C 1C72154A
	v_mfma_f32_16x16x32_fp8_fp8 v[28:31], a[76:77], a[12:13], v[28:31]// 000000008F88: D3F3001C 1C72194C
	buffer_load_dwordx4 a[48:51], v232, s[12:15], 0 offen offset:3072// 000000008F90: E05C1C00 808330E8
	v_mfma_f32_16x16x32_fp8_fp8 v[28:31], a[78:79], a[14:15], v[28:31]// 000000008F98: D3F3001C 1C721D4E
	v_mfma_f32_16x16x32_fp8_fp8 v[32:35], a[80:81], a[8:9], 0  // 000000008FA0: D3F30020 1A021150
	v_mfma_f32_16x16x32_fp8_fp8 v[32:35], a[82:83], a[10:11], v[32:35]// 000000008FA8: D3F30020 1C821552
	v_mfma_f32_16x16x32_fp8_fp8 v[32:35], a[84:85], a[12:13], v[32:35]// 000000008FB0: D3F30020 1C821954
	buffer_load_dwordx4 a[52:55], v233, s[12:15], 0 offen offset:3072// 000000008FB8: E05C1C00 808334E9
	v_mfma_f32_16x16x32_fp8_fp8 v[32:35], a[86:87], a[14:15], v[32:35]// 000000008FC0: D3F30020 1C821D56
	v_mfma_f32_16x16x32_fp8_fp8 v[36:39], a[56:57], a[16:17], 0// 000000008FC8: D3F30024 1A022138
	v_mfma_f32_16x16x32_fp8_fp8 v[36:39], a[58:59], a[18:19], v[36:39]// 000000008FD0: D3F30024 1C92253A
	v_mfma_f32_16x16x32_fp8_fp8 v[36:39], a[60:61], a[20:21], v[36:39]// 000000008FD8: D3F30024 1C92293C
	v_mfma_f32_16x16x32_fp8_fp8 v[36:39], a[62:63], a[22:23], v[36:39]// 000000008FE0: D3F30024 1C922D3E
	v_mfma_f32_16x16x32_fp8_fp8 v[40:43], a[64:65], a[16:17], 0// 000000008FE8: D3F30028 1A022140
	v_mfma_f32_16x16x32_fp8_fp8 v[40:43], a[66:67], a[18:19], v[40:43]// 000000008FF0: D3F30028 1CA22542
	v_mfma_f32_16x16x32_fp8_fp8 v[40:43], a[68:69], a[20:21], v[40:43]// 000000008FF8: D3F30028 1CA22944
	v_mfma_f32_16x16x32_fp8_fp8 v[40:43], a[70:71], a[22:23], v[40:43]// 000000009000: D3F30028 1CA22D46
	v_mfma_f32_16x16x32_fp8_fp8 v[44:47], a[72:73], a[16:17], 0// 000000009008: D3F3002C 1A022148
	v_mfma_f32_16x16x32_fp8_fp8 v[44:47], a[74:75], a[18:19], v[44:47]// 000000009010: D3F3002C 1CB2254A
	v_mfma_f32_16x16x32_fp8_fp8 v[44:47], a[76:77], a[20:21], v[44:47]// 000000009018: D3F3002C 1CB2294C
	v_mfma_f32_16x16x32_fp8_fp8 v[44:47], a[78:79], a[22:23], v[44:47]// 000000009020: D3F3002C 1CB22D4E
	v_mfma_f32_16x16x32_fp8_fp8 v[48:51], a[80:81], a[16:17], 0// 000000009028: D3F30030 1A022150
	v_mfma_f32_16x16x32_fp8_fp8 v[48:51], a[82:83], a[18:19], v[48:51]// 000000009030: D3F30030 1CC22552
	v_mfma_f32_16x16x32_fp8_fp8 v[48:51], a[84:85], a[20:21], v[48:51]// 000000009038: D3F30030 1CC22954
	v_mfma_f32_16x16x32_fp8_fp8 v[48:51], a[86:87], a[22:23], v[48:51]// 000000009040: D3F30030 1CC22D56
	s_waitcnt vmcnt(16)                                        // 000000009048: BF8C4F70
	v_or_b32_dpp v36, v44, v36 row_shr:8 row_mask:0xf bank_mask:0xf bound_ctrl:1// 00000000904C: 284848FA FF09182C
	v_or_b32_dpp v37, v45, v37 row_shr:8 row_mask:0xf bank_mask:0xf bound_ctrl:1// 000000009054: 284A4AFA FF09182D
	v_or_b32_dpp v38, v46, v38 row_shr:8 row_mask:0xf bank_mask:0xf bound_ctrl:1// 00000000905C: 284C4CFA FF09182E
	v_or_b32_dpp v39, v47, v39 row_shr:8 row_mask:0xf bank_mask:0xf bound_ctrl:1// 000000009064: 284E4EFA FF09182F
	v_or_b32_dpp v40, v48, v40 row_shr:8 row_mask:0xf bank_mask:0xf bound_ctrl:1// 00000000906C: 285050FA FF091830
	v_or_b32_dpp v41, v49, v41 row_shr:8 row_mask:0xf bank_mask:0xf bound_ctrl:1// 000000009074: 285252FA FF091831
	v_or_b32_dpp v42, v50, v42 row_shr:8 row_mask:0xf bank_mask:0xf bound_ctrl:1// 00000000907C: 285454FA FF091832
	v_or_b32_dpp v43, v51, v43 row_shr:8 row_mask:0xf bank_mask:0xf bound_ctrl:1// 000000009084: 285656FA FF091833
	v_mov_b32_dpp v168, v155 row_shr:4 row_mask:0xf bank_mask:0xf// 00000000908C: 7F5002FA FF01149B
	v_mov_b32_dpp v169, v155 row_shl:4 row_mask:0xf bank_mask:0xf// 000000009094: 7F5202FA FF01049B
	v_cndmask_b32_e64 v164, v155, v168, s[2:3]                 // 00000000909C: D10000A4 000B519B
	v_cndmask_b32_e64 v165, v169, v155, s[2:3]                 // 0000000090A4: D10000A5 000B37A9
	v_mov_b32_dpp v168, v157 row_shr:4 row_mask:0xf bank_mask:0xf// 0000000090AC: 7F5002FA FF01149D
	v_mov_b32_dpp v169, v157 row_shl:4 row_mask:0xf bank_mask:0xf// 0000000090B4: 7F5202FA FF01049D
	v_cndmask_b32_e64 v166, v157, v168, s[2:3]                 // 0000000090BC: D10000A6 000B519D
	v_cndmask_b32_e64 v167, v169, v157, s[2:3]                 // 0000000090C4: D10000A7 000B3BA9
	v_pk_mul_f32 v[4:5], v[148:149], v[4:5]                    // 0000000090CC: D3B14004 18020994
	v_pk_mul_f32 v[6:7], v[148:149], v[6:7]                    // 0000000090D4: D3B14006 18020D94
	v_pk_mul_f32 v[8:9], v[148:149], v[8:9]                    // 0000000090DC: D3B14008 18021194
	v_pk_mul_f32 v[10:11], v[148:149], v[10:11]                // 0000000090E4: D3B1400A 18021594
	v_pk_mul_f32 v[12:13], v[148:149], v[12:13]                // 0000000090EC: D3B1400C 18021994
	v_pk_mul_f32 v[14:15], v[148:149], v[14:15]                // 0000000090F4: D3B1400E 18021D94
	v_pk_mul_f32 v[16:17], v[148:149], v[16:17]                // 0000000090FC: D3B14010 18022194
	v_pk_mul_f32 v[18:19], v[148:149], v[18:19]                // 000000009104: D3B14012 18022594
	v_mul_f32_dpp v4, v155, v4 row_newbcast:0 row_mask:0xf bank_mask:0xf// 00000000910C: 0A0808FA FF01509B
	v_mul_f32_dpp v5, v155, v5 row_newbcast:1 row_mask:0xf bank_mask:0xf// 000000009114: 0A0A0AFA FF01519B
	v_mul_f32_dpp v6, v155, v6 row_newbcast:2 row_mask:0xf bank_mask:0xf// 00000000911C: 0A0C0CFA FF01529B
	v_mul_f32_dpp v7, v155, v7 row_newbcast:3 row_mask:0xf bank_mask:0xf// 000000009124: 0A0E0EFA FF01539B
	v_mul_f32_dpp v8, v155, v8 row_newbcast:4 row_mask:0xf bank_mask:0xf// 00000000912C: 0A1010FA FF01549B
	v_mul_f32_dpp v9, v155, v9 row_newbcast:5 row_mask:0xf bank_mask:0xf// 000000009134: 0A1212FA FF01559B
	v_mul_f32_dpp v10, v155, v10 row_newbcast:6 row_mask:0xf bank_mask:0xf// 00000000913C: 0A1414FA FF01569B
	v_mul_f32_dpp v11, v155, v11 row_newbcast:7 row_mask:0xf bank_mask:0xf// 000000009144: 0A1616FA FF01579B
	v_mul_f32_dpp v12, v155, v12 row_newbcast:8 row_mask:0xf bank_mask:0xf// 00000000914C: 0A1818FA FF01589B
	v_mul_f32_dpp v13, v155, v13 row_newbcast:9 row_mask:0xf bank_mask:0xf// 000000009154: 0A1A1AFA FF01599B
	v_mul_f32_dpp v14, v155, v14 row_newbcast:10 row_mask:0xf bank_mask:0xf// 00000000915C: 0A1C1CFA FF015A9B
	v_mul_f32_dpp v15, v155, v15 row_newbcast:11 row_mask:0xf bank_mask:0xf// 000000009164: 0A1E1EFA FF015B9B
	v_mul_f32_dpp v16, v155, v16 row_newbcast:12 row_mask:0xf bank_mask:0xf// 00000000916C: 0A2020FA FF015C9B
	v_mul_f32_dpp v17, v155, v17 row_newbcast:13 row_mask:0xf bank_mask:0xf// 000000009174: 0A2222FA FF015D9B
	v_mul_f32_dpp v18, v155, v18 row_newbcast:14 row_mask:0xf bank_mask:0xf// 00000000917C: 0A2424FA FF015E9B
	v_mul_f32_dpp v19, v155, v19 row_newbcast:15 row_mask:0xf bank_mask:0xf// 000000009184: 0A2626FA FF015F9B
	v_pk_mul_f32 v[20:21], v[150:151], v[20:21]                // 00000000918C: D3B14014 18022996
	v_pk_mul_f32 v[22:23], v[150:151], v[22:23]                // 000000009194: D3B14016 18022D96
	v_pk_mul_f32 v[24:25], v[150:151], v[24:25]                // 00000000919C: D3B14018 18023196
	v_pk_mul_f32 v[26:27], v[150:151], v[26:27]                // 0000000091A4: D3B1401A 18023596
	v_pk_mul_f32 v[28:29], v[150:151], v[28:29]                // 0000000091AC: D3B1401C 18023996
	v_pk_mul_f32 v[30:31], v[150:151], v[30:31]                // 0000000091B4: D3B1401E 18023D96
	v_pk_mul_f32 v[32:33], v[150:151], v[32:33]                // 0000000091BC: D3B14020 18024196
	v_pk_mul_f32 v[34:35], v[150:151], v[34:35]                // 0000000091C4: D3B14022 18024596
	v_mul_f32_dpp v20, v155, v20 row_newbcast:0 row_mask:0xf bank_mask:0xf// 0000000091CC: 0A2828FA FF01509B
	v_mul_f32_dpp v21, v155, v21 row_newbcast:1 row_mask:0xf bank_mask:0xf// 0000000091D4: 0A2A2AFA FF01519B
	v_mul_f32_dpp v22, v155, v22 row_newbcast:2 row_mask:0xf bank_mask:0xf// 0000000091DC: 0A2C2CFA FF01529B
	v_mul_f32_dpp v23, v155, v23 row_newbcast:3 row_mask:0xf bank_mask:0xf// 0000000091E4: 0A2E2EFA FF01539B
	v_mul_f32_dpp v24, v155, v24 row_newbcast:4 row_mask:0xf bank_mask:0xf// 0000000091EC: 0A3030FA FF01549B
	v_mul_f32_dpp v25, v155, v25 row_newbcast:5 row_mask:0xf bank_mask:0xf// 0000000091F4: 0A3232FA FF01559B
	v_mul_f32_dpp v26, v155, v26 row_newbcast:6 row_mask:0xf bank_mask:0xf// 0000000091FC: 0A3434FA FF01569B
	v_mul_f32_dpp v27, v155, v27 row_newbcast:7 row_mask:0xf bank_mask:0xf// 000000009204: 0A3636FA FF01579B
	v_mul_f32_dpp v28, v155, v28 row_newbcast:8 row_mask:0xf bank_mask:0xf// 00000000920C: 0A3838FA FF01589B
	v_mul_f32_dpp v29, v155, v29 row_newbcast:9 row_mask:0xf bank_mask:0xf// 000000009214: 0A3A3AFA FF01599B
	v_mul_f32_dpp v30, v155, v30 row_newbcast:10 row_mask:0xf bank_mask:0xf// 00000000921C: 0A3C3CFA FF015A9B
	v_mul_f32_dpp v31, v155, v31 row_newbcast:11 row_mask:0xf bank_mask:0xf// 000000009224: 0A3E3EFA FF015B9B
	v_mul_f32_dpp v32, v155, v32 row_newbcast:12 row_mask:0xf bank_mask:0xf// 00000000922C: 0A4040FA FF015C9B
	v_mul_f32_dpp v33, v155, v33 row_newbcast:13 row_mask:0xf bank_mask:0xf// 000000009234: 0A4242FA FF015D9B
	v_mul_f32_dpp v34, v155, v34 row_newbcast:14 row_mask:0xf bank_mask:0xf// 00000000923C: 0A4444FA FF015E9B
	v_mul_f32_dpp v35, v155, v35 row_newbcast:15 row_mask:0xf bank_mask:0xf// 000000009244: 0A4646FA FF015F9B
	v_pk_mul_f32 v[36:37], v[152:153], v[36:37]                // 00000000924C: D3B14024 18024998
	v_pk_mul_f32 v[38:39], v[152:153], v[38:39]                // 000000009254: D3B14026 18024D98
	v_pk_mul_f32 v[40:41], v[152:153], v[40:41]                // 00000000925C: D3B14028 18025198
	v_pk_mul_f32 v[42:43], v[152:153], v[42:43]                // 000000009264: D3B1402A 18025598
	v_mul_f32_dpp v36, v164, v36 quad_perm:[0,0,0,0] row_mask:0xf bank_mask:0xf// 00000000926C: 0A4848FA FF0000A4
	v_mul_f32_dpp v37, v164, v37 quad_perm:[1,1,1,1] row_mask:0xf bank_mask:0xf// 000000009274: 0A4A4AFA FF0055A4
	v_mul_f32_dpp v38, v164, v38 quad_perm:[2,2,2,2] row_mask:0xf bank_mask:0xf// 00000000927C: 0A4C4CFA FF00AAA4
	v_mul_f32_dpp v39, v164, v39 quad_perm:[3,3,3,3] row_mask:0xf bank_mask:0xf// 000000009284: 0A4E4EFA FF00FFA4
	v_mul_f32_dpp v40, v165, v40 quad_perm:[0,0,0,0] row_mask:0xf bank_mask:0xf// 00000000928C: 0A5050FA FF0000A5
	v_mul_f32_dpp v41, v165, v41 quad_perm:[1,1,1,1] row_mask:0xf bank_mask:0xf// 000000009294: 0A5252FA FF0055A5
	v_mul_f32_dpp v42, v165, v42 quad_perm:[2,2,2,2] row_mask:0xf bank_mask:0xf// 00000000929C: 0A5454FA FF00AAA5
	v_mul_f32_dpp v43, v165, v43 quad_perm:[3,3,3,3] row_mask:0xf bank_mask:0xf// 0000000092A4: 0A5656FA FF00FFA5
	v_mov_b32_e32 v190, v36                                    // 0000000092AC: 7F7C0324
	v_max3_f32 v190, v36, v37, v190                            // 0000000092B0: D1D300BE 06FA4B24
	v_max3_f32 v190, v38, v39, v190                            // 0000000092B8: D1D300BE 06FA4F26
	v_max3_f32 v190, v40, v41, v190                            // 0000000092C0: D1D300BE 06FA5328
	v_max3_f32 v190, v42, v43, v190                            // 0000000092C8: D1D300BE 06FA572A
	v_mov_b32_e32 v189, v20                                    // 0000000092D0: 7F7A0314
	v_max3_f32 v189, v20, v21, v189                            // 0000000092D4: D1D300BD 06F62B14
	v_max3_f32 v189, v22, v23, v189                            // 0000000092DC: D1D300BD 06F62F16
	v_max3_f32 v189, v24, v25, v189                            // 0000000092E4: D1D300BD 06F63318
	v_max3_f32 v189, v26, v27, v189                            // 0000000092EC: D1D300BD 06F6371A
	v_max3_f32 v189, v28, v29, v189                            // 0000000092F4: D1D300BD 06F63B1C
	v_max3_f32 v189, v30, v31, v189                            // 0000000092FC: D1D300BD 06F63F1E
	v_max3_f32 v189, v32, v33, v189                            // 000000009304: D1D300BD 06F64320
	v_max3_f32 v189, v34, v35, v189                            // 00000000930C: D1D300BD 06F64722
	v_mov_b32_e32 v188, v4                                     // 000000009314: 7F780304
	v_max3_f32 v188, v4, v5, v188                              // 000000009318: D1D300BC 06F20B04
	v_max3_f32 v188, v6, v7, v188                              // 000000009320: D1D300BC 06F20F06
	v_max3_f32 v188, v8, v9, v188                              // 000000009328: D1D300BC 06F21308
	v_max3_f32 v188, v10, v11, v188                            // 000000009330: D1D300BC 06F2170A
	v_max3_f32 v188, v12, v13, v188                            // 000000009338: D1D300BC 06F21B0C
	v_max3_f32 v188, v14, v15, v188                            // 000000009340: D1D300BC 06F21F0E
	v_max3_f32 v188, v16, v17, v188                            // 000000009348: D1D300BC 06F22310
	v_max3_f32 v188, v18, v19, v188                            // 000000009350: D1D300BC 06F22712
	v_max_f32_dpp v190, v190, v190 row_ror:8 row_mask:0xf bank_mask:0xf// 000000009358: 177D7CFA FF0128BE
	v_pk_mul_f32 v[124:125], v[200:201], v[124:125]            // 000000009360: D3B1407C 1802F9C8
	v_pk_mul_f32 v[126:127], v[200:201], v[126:127]            // 000000009368: D3B1407E 1802FDC8
	v_pk_mul_f32 v[128:129], v[200:201], v[128:129]            // 000000009370: D3B14080 180301C8
	v_pk_mul_f32 v[130:131], v[200:201], v[130:131]            // 000000009378: D3B14082 180305C8
	v_pk_mul_f32 v[132:133], v[202:203], v[132:133]            // 000000009380: D3B14084 180309CA
	v_pk_mul_f32 v[134:135], v[202:203], v[134:135]            // 000000009388: D3B14086 18030DCA
	v_pk_mul_f32 v[136:137], v[202:203], v[136:137]            // 000000009390: D3B14088 180311CA
	v_pk_mul_f32 v[138:139], v[202:203], v[138:139]            // 000000009398: D3B1408A 180315CA
	v_pk_mul_f32 v[140:141], v[204:205], v[140:141]            // 0000000093A0: D3B1408C 180319CC
	v_pk_mul_f32 v[142:143], v[204:205], v[142:143]            // 0000000093A8: D3B1408E 18031DCC
	v_pk_mul_f32 v[144:145], v[204:205], v[144:145]            // 0000000093B0: D3B14090 180321CC
	v_pk_mul_f32 v[146:147], v[204:205], v[146:147]            // 0000000093B8: D3B14092 180325CC
	ds_bpermute_b32 v172, v212, v188                           // 0000000093C0: D87E0000 AC00BCD4
	ds_bpermute_b32 v173, v213, v188                           // 0000000093C8: D87E0000 AD00BCD5
	ds_bpermute_b32 v174, v214, v188                           // 0000000093D0: D87E0000 AE00BCD6
	ds_bpermute_b32 v175, v212, v189                           // 0000000093D8: D87E0000 AF00BDD4
	ds_bpermute_b32 v176, v213, v189                           // 0000000093E0: D87E0000 B000BDD5
	ds_bpermute_b32 v177, v214, v189                           // 0000000093E8: D87E0000 B100BDD6
	ds_bpermute_b32 v178, v212, v190                           // 0000000093F0: D87E0000 B200BED4
	ds_bpermute_b32 v179, v213, v190                           // 0000000093F8: D87E0000 B300BED5
	ds_bpermute_b32 v180, v214, v190                           // 000000009400: D87E0000 B400BED6
	s_waitcnt lgkmcnt(6)                                       // 000000009408: BF8CC67F
	v_max3_f32 v188, v172, v173, v188                          // 00000000940C: D1D300BC 06F35BAC
	v_max_f32_e32 v188, v174, v188                             // 000000009414: 177979AE
	s_waitcnt lgkmcnt(3)                                       // 000000009418: BF8CC37F
	v_max3_f32 v189, v175, v176, v189                          // 00000000941C: D1D300BD 06F761AF
	v_max_f32_e32 v189, v177, v189                             // 000000009424: 177B7BB1
	s_waitcnt lgkmcnt(0)                                       // 000000009428: BF8CC07F
	v_max3_f32 v190, v178, v179, v190                          // 00000000942C: D1D300BE 06FB67B2
	v_max_f32_e32 v190, v180, v190                             // 000000009434: 177D7DB4
	ds_write_b128 v252, v[188:191]                             // 000000009438: D9BE0000 0000BCFC
	s_waitcnt lgkmcnt(0)                                       // 000000009440: BF8CC07F
	s_barrier                                                  // 000000009444: BF8A0000
	v_pk_mul_f32 v[100:101], v[158:159], v[100:101]            // 000000009448: D3B14064 1802C99E
	v_pk_mul_f32 v[102:103], v[158:159], v[102:103]            // 000000009450: D3B14066 1802CD9E
	v_pk_mul_f32 v[104:105], v[158:159], v[104:105]            // 000000009458: D3B14068 1802D19E
	v_pk_mul_f32 v[106:107], v[158:159], v[106:107]            // 000000009460: D3B1406A 1802D59E
	v_pk_mul_f32 v[108:109], v[160:161], v[108:109]            // 000000009468: D3B1406C 1802D9A0
	v_pk_mul_f32 v[110:111], v[160:161], v[110:111]            // 000000009470: D3B1406E 1802DDA0
	v_pk_mul_f32 v[112:113], v[160:161], v[112:113]            // 000000009478: D3B14070 1802E1A0
	v_pk_mul_f32 v[114:115], v[160:161], v[114:115]            // 000000009480: D3B14072 1802E5A0
	v_pk_mul_f32 v[116:117], v[162:163], v[116:117]            // 000000009488: D3B14074 1802E9A2
	v_pk_mul_f32 v[118:119], v[162:163], v[118:119]            // 000000009490: D3B14076 1802EDA2
	v_pk_mul_f32 v[120:121], v[162:163], v[120:121]            // 000000009498: D3B14078 1802F1A2
	v_pk_mul_f32 v[122:123], v[162:163], v[122:123]            // 0000000094A0: D3B1407A 1802F5A2
	ds_read_b128 v[172:175], v253                              // 0000000094A8: D9FE0000 AC0000FD
	ds_read_b128 v[176:179], v253 offset:256                   // 0000000094B0: D9FE0100 B00000FD
	ds_read_b128 v[180:183], v253 offset:512                   // 0000000094B8: D9FE0200 B40000FD
	ds_read_b128 v[184:187], v253 offset:768                   // 0000000094C0: D9FE0300 B80000FD
	s_waitcnt lgkmcnt(0)                                       // 0000000094C8: BF8CC07F
	v_max3_f32 v188, v172, v176, v188                          // 0000000094CC: D1D300BC 06F361AC
	v_max3_f32 v189, v173, v177, v189                          // 0000000094D4: D1D300BD 06F763AD
	v_max3_f32 v190, v174, v178, v190                          // 0000000094DC: D1D300BE 06FB65AE
	v_max3_f32 v188, v180, v184, v188                          // 0000000094E4: D1D300BC 06F371B4
	v_max3_f32 v189, v181, v185, v189                          // 0000000094EC: D1D300BD 06F773B5
	v_max3_f32 v190, v182, v186, v190                          // 0000000094F4: D1D300BE 06FB75B6
	v_max_f32_e32 v197, v188, v194                             // 0000000094FC: 178B85BC
	v_mul_f32_e64 v168, -s46, v197                             // 000000009500: D10500A8 20038A2E
	v_mov_b32_e32 v169, v168                                   // 000000009508: 7F5203A8
	v_pk_fma_f32 v[4:5], v[4:5], s[46:47], v[168:169]          // 00000000950C: D3B04004 1EA05D04
	v_pk_fma_f32 v[6:7], v[6:7], s[46:47], v[168:169]          // 000000009514: D3B04006 1EA05D06
	v_exp_f32_e32 v4, v4                                       // 00000000951C: 7E084104
	v_exp_f32_e32 v5, v5                                       // 000000009520: 7E0A4105
	v_exp_f32_e32 v6, v6                                       // 000000009524: 7E0C4106
	v_exp_f32_e32 v7, v7                                       // 000000009528: 7E0E4107
	v_pk_fma_f32 v[8:9], v[8:9], s[46:47], v[168:169]          // 00000000952C: D3B04008 1EA05D08
	v_pk_fma_f32 v[10:11], v[10:11], s[46:47], v[168:169]      // 000000009534: D3B0400A 1EA05D0A
	v_exp_f32_e32 v8, v8                                       // 00000000953C: 7E104108
	v_exp_f32_e32 v9, v9                                       // 000000009540: 7E124109
	v_exp_f32_e32 v10, v10                                     // 000000009544: 7E14410A
	v_exp_f32_e32 v11, v11                                     // 000000009548: 7E16410B
	v_pk_fma_f32 v[12:13], v[12:13], s[46:47], v[168:169]      // 00000000954C: D3B0400C 1EA05D0C
	v_pk_fma_f32 v[14:15], v[14:15], s[46:47], v[168:169]      // 000000009554: D3B0400E 1EA05D0E
	v_exp_f32_e32 v12, v12                                     // 00000000955C: 7E18410C
	v_exp_f32_e32 v13, v13                                     // 000000009560: 7E1A410D
	v_exp_f32_e32 v14, v14                                     // 000000009564: 7E1C410E
	v_exp_f32_e32 v15, v15                                     // 000000009568: 7E1E410F
	v_pk_fma_f32 v[16:17], v[16:17], s[46:47], v[168:169]      // 00000000956C: D3B04010 1EA05D10
	v_pk_fma_f32 v[18:19], v[18:19], s[46:47], v[168:169]      // 000000009574: D3B04012 1EA05D12
	v_exp_f32_e32 v16, v16                                     // 00000000957C: 7E204110
	v_exp_f32_e32 v17, v17                                     // 000000009580: 7E224111
	v_exp_f32_e32 v18, v18                                     // 000000009584: 7E244112
	v_exp_f32_e32 v19, v19                                     // 000000009588: 7E264113
	v_max_f32_e32 v198, v189, v195                             // 00000000958C: 178D87BD
	v_mul_f32_e64 v168, -s46, v198                             // 000000009590: D10500A8 20038C2E
	v_mov_b32_e32 v169, v168                                   // 000000009598: 7F5203A8
	v_pk_fma_f32 v[20:21], v[20:21], s[46:47], v[168:169]      // 00000000959C: D3B04014 1EA05D14
	v_pk_fma_f32 v[22:23], v[22:23], s[46:47], v[168:169]      // 0000000095A4: D3B04016 1EA05D16
	v_exp_f32_e32 v20, v20                                     // 0000000095AC: 7E284114
	v_exp_f32_e32 v21, v21                                     // 0000000095B0: 7E2A4115
	v_exp_f32_e32 v22, v22                                     // 0000000095B4: 7E2C4116
	v_exp_f32_e32 v23, v23                                     // 0000000095B8: 7E2E4117
	v_pk_fma_f32 v[24:25], v[24:25], s[46:47], v[168:169]      // 0000000095BC: D3B04018 1EA05D18
	v_pk_fma_f32 v[26:27], v[26:27], s[46:47], v[168:169]      // 0000000095C4: D3B0401A 1EA05D1A
	v_exp_f32_e32 v24, v24                                     // 0000000095CC: 7E304118
	v_exp_f32_e32 v25, v25                                     // 0000000095D0: 7E324119
	v_exp_f32_e32 v26, v26                                     // 0000000095D4: 7E34411A
	v_exp_f32_e32 v27, v27                                     // 0000000095D8: 7E36411B
	v_pk_fma_f32 v[28:29], v[28:29], s[46:47], v[168:169]      // 0000000095DC: D3B0401C 1EA05D1C
	v_pk_fma_f32 v[30:31], v[30:31], s[46:47], v[168:169]      // 0000000095E4: D3B0401E 1EA05D1E
	v_exp_f32_e32 v28, v28                                     // 0000000095EC: 7E38411C
	v_exp_f32_e32 v29, v29                                     // 0000000095F0: 7E3A411D
	v_exp_f32_e32 v30, v30                                     // 0000000095F4: 7E3C411E
	v_exp_f32_e32 v31, v31                                     // 0000000095F8: 7E3E411F
	v_pk_fma_f32 v[32:33], v[32:33], s[46:47], v[168:169]      // 0000000095FC: D3B04020 1EA05D20
	v_pk_fma_f32 v[34:35], v[34:35], s[46:47], v[168:169]      // 000000009604: D3B04022 1EA05D22
	v_exp_f32_e32 v32, v32                                     // 00000000960C: 7E404120
	v_exp_f32_e32 v33, v33                                     // 000000009610: 7E424121
	v_exp_f32_e32 v34, v34                                     // 000000009614: 7E444122
	v_exp_f32_e32 v35, v35                                     // 000000009618: 7E464123
	v_max_f32_e32 v199, v190, v196                             // 00000000961C: 178F89BE
	v_mul_f32_e64 v168, -s46, v199                             // 000000009620: D10500A8 20038E2E
	v_mov_b32_e32 v169, v168                                   // 000000009628: 7F5203A8
	v_pk_fma_f32 v[36:37], v[36:37], s[46:47], v[168:169]      // 00000000962C: D3B04024 1EA05D24
	v_pk_fma_f32 v[38:39], v[38:39], s[46:47], v[168:169]      // 000000009634: D3B04026 1EA05D26
	v_exp_f32_e32 v36, v36                                     // 00000000963C: 7E484124
	v_exp_f32_e32 v37, v37                                     // 000000009640: 7E4A4125
	v_exp_f32_e32 v38, v38                                     // 000000009644: 7E4C4126
	v_exp_f32_e32 v39, v39                                     // 000000009648: 7E4E4127
	v_pk_fma_f32 v[40:41], v[40:41], s[46:47], v[168:169]      // 00000000964C: D3B04028 1EA05D28
	v_pk_fma_f32 v[42:43], v[42:43], s[46:47], v[168:169]      // 000000009654: D3B0402A 1EA05D2A
	v_exp_f32_e32 v40, v40                                     // 00000000965C: 7E504128
	v_exp_f32_e32 v41, v41                                     // 000000009660: 7E524129
	v_exp_f32_e32 v42, v42                                     // 000000009664: 7E54412A
	v_exp_f32_e32 v43, v43                                     // 000000009668: 7E56412B
	v_mul_f32_dpp v52, v157, v4 row_newbcast:0 row_mask:0xf bank_mask:0xf// 00000000966C: 0A6808FA FF01509D
	v_mul_f32_dpp v53, v157, v5 row_newbcast:1 row_mask:0xf bank_mask:0xf// 000000009674: 0A6A0AFA FF01519D
	v_mul_f32_dpp v54, v157, v6 row_newbcast:2 row_mask:0xf bank_mask:0xf// 00000000967C: 0A6C0CFA FF01529D
	v_mul_f32_dpp v55, v157, v7 row_newbcast:3 row_mask:0xf bank_mask:0xf// 000000009684: 0A6E0EFA FF01539D
	v_mul_f32_dpp v56, v157, v8 row_newbcast:4 row_mask:0xf bank_mask:0xf// 00000000968C: 0A7010FA FF01549D
	v_mul_f32_dpp v57, v157, v9 row_newbcast:5 row_mask:0xf bank_mask:0xf// 000000009694: 0A7212FA FF01559D
	v_mul_f32_dpp v58, v157, v10 row_newbcast:6 row_mask:0xf bank_mask:0xf// 00000000969C: 0A7414FA FF01569D
	v_mul_f32_dpp v59, v157, v11 row_newbcast:7 row_mask:0xf bank_mask:0xf// 0000000096A4: 0A7616FA FF01579D
	v_mul_f32_dpp v60, v157, v12 row_newbcast:8 row_mask:0xf bank_mask:0xf// 0000000096AC: 0A7818FA FF01589D
	v_mul_f32_dpp v61, v157, v13 row_newbcast:9 row_mask:0xf bank_mask:0xf// 0000000096B4: 0A7A1AFA FF01599D
	v_mul_f32_dpp v62, v157, v14 row_newbcast:10 row_mask:0xf bank_mask:0xf// 0000000096BC: 0A7C1CFA FF015A9D
	v_mul_f32_dpp v63, v157, v15 row_newbcast:11 row_mask:0xf bank_mask:0xf// 0000000096C4: 0A7E1EFA FF015B9D
	v_mul_f32_dpp v64, v157, v16 row_newbcast:12 row_mask:0xf bank_mask:0xf// 0000000096CC: 0A8020FA FF015C9D
	v_mul_f32_dpp v65, v157, v17 row_newbcast:13 row_mask:0xf bank_mask:0xf// 0000000096D4: 0A8222FA FF015D9D
	v_mul_f32_dpp v66, v157, v18 row_newbcast:14 row_mask:0xf bank_mask:0xf// 0000000096DC: 0A8424FA FF015E9D
	v_mul_f32_dpp v67, v157, v19 row_newbcast:15 row_mask:0xf bank_mask:0xf// 0000000096E4: 0A8626FA FF015F9D
	v_mul_f32_dpp v68, v157, v20 row_newbcast:0 row_mask:0xf bank_mask:0xf// 0000000096EC: 0A8828FA FF01509D
	v_mul_f32_dpp v69, v157, v21 row_newbcast:1 row_mask:0xf bank_mask:0xf// 0000000096F4: 0A8A2AFA FF01519D
	v_mul_f32_dpp v70, v157, v22 row_newbcast:2 row_mask:0xf bank_mask:0xf// 0000000096FC: 0A8C2CFA FF01529D
	v_mul_f32_dpp v71, v157, v23 row_newbcast:3 row_mask:0xf bank_mask:0xf// 000000009704: 0A8E2EFA FF01539D
	v_mul_f32_dpp v72, v157, v24 row_newbcast:4 row_mask:0xf bank_mask:0xf// 00000000970C: 0A9030FA FF01549D
	v_mul_f32_dpp v73, v157, v25 row_newbcast:5 row_mask:0xf bank_mask:0xf// 000000009714: 0A9232FA FF01559D
	v_mul_f32_dpp v74, v157, v26 row_newbcast:6 row_mask:0xf bank_mask:0xf// 00000000971C: 0A9434FA FF01569D
	v_mul_f32_dpp v75, v157, v27 row_newbcast:7 row_mask:0xf bank_mask:0xf// 000000009724: 0A9636FA FF01579D
	v_mul_f32_dpp v76, v157, v28 row_newbcast:8 row_mask:0xf bank_mask:0xf// 00000000972C: 0A9838FA FF01589D
	v_mul_f32_dpp v77, v157, v29 row_newbcast:9 row_mask:0xf bank_mask:0xf// 000000009734: 0A9A3AFA FF01599D
	v_mul_f32_dpp v78, v157, v30 row_newbcast:10 row_mask:0xf bank_mask:0xf// 00000000973C: 0A9C3CFA FF015A9D
	v_mul_f32_dpp v79, v157, v31 row_newbcast:11 row_mask:0xf bank_mask:0xf// 000000009744: 0A9E3EFA FF015B9D
	v_mul_f32_dpp v80, v157, v32 row_newbcast:12 row_mask:0xf bank_mask:0xf// 00000000974C: 0AA040FA FF015C9D
	v_mul_f32_dpp v81, v157, v33 row_newbcast:13 row_mask:0xf bank_mask:0xf// 000000009754: 0AA242FA FF015D9D
	v_mul_f32_dpp v82, v157, v34 row_newbcast:14 row_mask:0xf bank_mask:0xf// 00000000975C: 0AA444FA FF015E9D
	v_mul_f32_dpp v83, v157, v35 row_newbcast:15 row_mask:0xf bank_mask:0xf// 000000009764: 0AA646FA FF015F9D
	v_mul_f32_dpp v84, v166, v36 quad_perm:[0,0,0,0] row_mask:0xf bank_mask:0xf// 00000000976C: 0AA848FA FF0000A6
	v_mul_f32_dpp v85, v166, v37 quad_perm:[1,1,1,1] row_mask:0xf bank_mask:0xf// 000000009774: 0AAA4AFA FF0055A6
	v_mul_f32_dpp v86, v166, v38 quad_perm:[2,2,2,2] row_mask:0xf bank_mask:0xf// 00000000977C: 0AAC4CFA FF00AAA6
	v_mul_f32_dpp v87, v166, v39 quad_perm:[3,3,3,3] row_mask:0xf bank_mask:0xf// 000000009784: 0AAE4EFA FF00FFA6
	v_mul_f32_dpp v88, v167, v40 quad_perm:[0,0,0,0] row_mask:0xf bank_mask:0xf// 00000000978C: 0AB050FA FF0000A7
	v_mul_f32_dpp v89, v167, v41 quad_perm:[1,1,1,1] row_mask:0xf bank_mask:0xf// 000000009794: 0AB252FA FF0055A7
	v_mul_f32_dpp v90, v167, v42 quad_perm:[2,2,2,2] row_mask:0xf bank_mask:0xf// 00000000979C: 0AB454FA FF00AAA7
	v_mul_f32_dpp v91, v167, v43 quad_perm:[3,3,3,3] row_mask:0xf bank_mask:0xf// 0000000097A4: 0AB656FA FF00FFA7
	v_mov_b32_e32 v190, 0x358637bd                             // 0000000097AC: 7F7C02FF 358637BD
	v_max3_f32 v190, |v84|, |v85|, v190                        // 0000000097B4: D1D303BE 06FAAB54
	v_max3_f32 v190, |v86|, |v87|, v190                        // 0000000097BC: D1D303BE 06FAAF56
	v_max3_f32 v190, |v88|, |v89|, v190                        // 0000000097C4: D1D303BE 06FAB358
	v_max3_f32 v190, |v90|, |v91|, v190                        // 0000000097CC: D1D303BE 06FAB75A
	v_mov_b32_e32 v189, 0x358637bd                             // 0000000097D4: 7F7A02FF 358637BD
	v_max3_f32 v189, |v68|, |v69|, v189                        // 0000000097DC: D1D303BD 06F68B44
	v_max3_f32 v189, |v70|, |v71|, v189                        // 0000000097E4: D1D303BD 06F68F46
	v_max3_f32 v189, |v72|, |v73|, v189                        // 0000000097EC: D1D303BD 06F69348
	v_max3_f32 v189, |v74|, |v75|, v189                        // 0000000097F4: D1D303BD 06F6974A
	v_max3_f32 v189, |v76|, |v77|, v189                        // 0000000097FC: D1D303BD 06F69B4C
	v_max3_f32 v189, |v78|, |v79|, v189                        // 000000009804: D1D303BD 06F69F4E
	v_max3_f32 v189, |v80|, |v81|, v189                        // 00000000980C: D1D303BD 06F6A350
	v_max3_f32 v189, |v82|, |v83|, v189                        // 000000009814: D1D303BD 06F6A752
	v_mov_b32_e32 v188, 0x358637bd                             // 00000000981C: 7F7802FF 358637BD
	v_max3_f32 v188, |v52|, |v53|, v188                        // 000000009824: D1D303BC 06F26B34
	v_max3_f32 v188, |v54|, |v55|, v188                        // 00000000982C: D1D303BC 06F26F36
	v_max3_f32 v188, |v56|, |v57|, v188                        // 000000009834: D1D303BC 06F27338
	v_max3_f32 v188, |v58|, |v59|, v188                        // 00000000983C: D1D303BC 06F2773A
	v_max3_f32 v188, |v60|, |v61|, v188                        // 000000009844: D1D303BC 06F27B3C
	v_max3_f32 v188, |v62|, |v63|, v188                        // 00000000984C: D1D303BC 06F27F3E
	v_max3_f32 v188, |v64|, |v65|, v188                        // 000000009854: D1D303BC 06F28340
	v_max3_f32 v188, |v66|, |v67|, v188                        // 00000000985C: D1D303BC 06F28742
	v_max_f32_dpp v190, v190, v190 row_ror:8 row_mask:0xf bank_mask:0xf// 000000009864: 177D7CFA FF0128BE
	ds_bpermute_b32 v172, v212, v188                           // 00000000986C: D87E0000 AC00BCD4
	ds_bpermute_b32 v173, v213, v188                           // 000000009874: D87E0000 AD00BCD5
	ds_bpermute_b32 v174, v214, v188                           // 00000000987C: D87E0000 AE00BCD6
	ds_bpermute_b32 v175, v212, v189                           // 000000009884: D87E0000 AF00BDD4
	ds_bpermute_b32 v176, v213, v189                           // 00000000988C: D87E0000 B000BDD5
	ds_bpermute_b32 v177, v214, v189                           // 000000009894: D87E0000 B100BDD6
	ds_bpermute_b32 v178, v212, v190                           // 00000000989C: D87E0000 B200BED4
	ds_bpermute_b32 v179, v213, v190                           // 0000000098A4: D87E0000 B300BED5
	ds_bpermute_b32 v180, v214, v190                           // 0000000098AC: D87E0000 B400BED6
	s_waitcnt lgkmcnt(6)                                       // 0000000098B4: BF8CC67F
	v_max3_f32 v188, v172, v173, v188                          // 0000000098B8: D1D300BC 06F35BAC
	v_max_f32_e32 v188, v174, v188                             // 0000000098C0: 177979AE
	s_waitcnt lgkmcnt(3)                                       // 0000000098C4: BF8CC37F
	v_max3_f32 v189, v175, v176, v189                          // 0000000098C8: D1D300BD 06F761AF
	v_max_f32_e32 v189, v177, v189                             // 0000000098D0: 177B7BB1
	s_waitcnt lgkmcnt(0)                                       // 0000000098D4: BF8CC07F
	v_max3_f32 v190, v178, v179, v190                          // 0000000098D8: D1D300BE 06FB67B2
	v_max_f32_e32 v190, v180, v190                             // 0000000098E0: 177D7DB4
	ds_write_b128 v252, v[188:191] offset:4096                 // 0000000098E4: D9BE1000 0000BCFC
	buffer_load_dword v154, v238, s[20:23], 0 offen            // 0000000098EC: E0501000 80059AEE
	v_sub_f32_e32 v200, v194, v197                             // 0000000098F4: 05918BC2
	v_cmp_eq_u32_e64 s[98:99], v225, v194                      // 0000000098F8: D0CA0062 000385E1
	v_cndmask_b32_e64 v200, v200, 0, s[98:99]                  // 000000009900: D10000C8 018901C8
	v_mov_b32_e32 v194, v197                                   // 000000009908: 7F8403C5
	v_mul_f32_e32 v200, s46, v200                              // 00000000990C: 0B91902E
	v_exp_f32_e32 v200, v200                                   // 000000009910: 7F9041C8
	v_sub_f32_e32 v202, v195, v198                             // 000000009914: 05958DC3
	v_cmp_eq_u32_e64 s[98:99], v225, v195                      // 000000009918: D0CA0062 000387E1
	v_cndmask_b32_e64 v202, v202, 0, s[98:99]                  // 000000009920: D10000CA 018901CA
	v_mov_b32_e32 v195, v198                                   // 000000009928: 7F8603C6
	v_mul_f32_e32 v202, s46, v202                              // 00000000992C: 0B95942E
	v_exp_f32_e32 v202, v202                                   // 000000009930: 7F9441CA
	v_sub_f32_e32 v204, v196, v199                             // 000000009934: 05998FC4
	v_cmp_eq_u32_e64 s[98:99], v225, v196                      // 000000009938: D0CA0062 000389E1
	v_cndmask_b32_e64 v204, v204, 0, s[98:99]                  // 000000009940: D10000CC 018901CC
	v_mov_b32_e32 v196, v199                                   // 000000009948: 7F8803C7
	v_mul_f32_e32 v204, s46, v204                              // 00000000994C: 0B99982E
	v_exp_f32_e32 v204, v204                                   // 000000009950: 7F9841CC
	v_mov_b32_e32 v201, v200                                   // 000000009954: 7F9203C8
	v_mov_b32_e32 v203, v202                                   // 000000009958: 7F9603CA
	v_mov_b32_e32 v205, v204                                   // 00000000995C: 7F9A03CC
	s_waitcnt lgkmcnt(0)                                       // 000000009960: BF8CC07F
	s_barrier                                                  // 000000009964: BF8A0000
	buffer_load_dword v156, v239, s[24:27], 0 offen            // 000000009968: E0501000 80069CEF
	v_mul_f32_e32 v206, v200, v206                             // 000000009970: 0B9D9DC8
	v_mov_b32_e32 v207, 0                                      // 000000009974: 7F9E0280
	v_pk_add_f32 v[206:207], v[4:5], v[206:207]                // 000000009978: D3B240CE 18039D04
	v_pk_add_f32 v[206:207], v[6:7], v[206:207]                // 000000009980: D3B240CE 18039D06
	v_pk_add_f32 v[206:207], v[8:9], v[206:207]                // 000000009988: D3B240CE 18039D08
	v_pk_add_f32 v[206:207], v[10:11], v[206:207]              // 000000009990: D3B240CE 18039D0A
	v_pk_add_f32 v[206:207], v[12:13], v[206:207]              // 000000009998: D3B240CE 18039D0C
	v_pk_add_f32 v[206:207], v[14:15], v[206:207]              // 0000000099A0: D3B240CE 18039D0E
	v_pk_add_f32 v[206:207], v[16:17], v[206:207]              // 0000000099A8: D3B240CE 18039D10
	v_pk_add_f32 v[206:207], v[18:19], v[206:207]              // 0000000099B0: D3B240CE 18039D12
	v_add_f32_e32 v206, v207, v206                             // 0000000099B8: 039D9DCF
	v_mul_f32_e32 v208, v202, v208                             // 0000000099BC: 0BA1A1CA
	v_mov_b32_e32 v209, 0                                      // 0000000099C0: 7FA20280
	v_pk_add_f32 v[208:209], v[20:21], v[208:209]              // 0000000099C4: D3B240D0 1803A114
	v_pk_add_f32 v[208:209], v[22:23], v[208:209]              // 0000000099CC: D3B240D0 1803A116
	v_pk_add_f32 v[208:209], v[24:25], v[208:209]              // 0000000099D4: D3B240D0 1803A118
	v_pk_add_f32 v[208:209], v[26:27], v[208:209]              // 0000000099DC: D3B240D0 1803A11A
	v_pk_add_f32 v[208:209], v[28:29], v[208:209]              // 0000000099E4: D3B240D0 1803A11C
	v_pk_add_f32 v[208:209], v[30:31], v[208:209]              // 0000000099EC: D3B240D0 1803A11E
	v_pk_add_f32 v[208:209], v[32:33], v[208:209]              // 0000000099F4: D3B240D0 1803A120
	v_pk_add_f32 v[208:209], v[34:35], v[208:209]              // 0000000099FC: D3B240D0 1803A122
	v_add_f32_e32 v208, v209, v208                             // 000000009A04: 03A1A1D1
	v_mul_f32_e32 v210, v204, v210                             // 000000009A08: 0BA5A5CC
	v_mov_b32_e32 v211, 0                                      // 000000009A0C: 7FA60280
	v_pk_add_f32 v[210:211], v[36:37], v[210:211]              // 000000009A10: D3B240D2 1803A524
	v_pk_add_f32 v[210:211], v[38:39], v[210:211]              // 000000009A18: D3B240D2 1803A526
	v_pk_add_f32 v[210:211], v[40:41], v[210:211]              // 000000009A20: D3B240D2 1803A528
	v_pk_add_f32 v[210:211], v[42:43], v[210:211]              // 000000009A28: D3B240D2 1803A52A
	v_add_f32_e32 v210, v211, v210                             // 000000009A30: 03A5A5D3
	ds_read_b128 v[172:175], v253 offset:4096                  // 000000009A34: D9FE1000 AC0000FD
	ds_read_b128 v[176:179], v253 offset:4352                  // 000000009A3C: D9FE1100 B00000FD
	ds_read_b128 v[180:183], v253 offset:4608                  // 000000009A44: D9FE1200 B40000FD
	ds_read_b128 v[184:187], v253 offset:4864                  // 000000009A4C: D9FE1300 B80000FD
	s_waitcnt lgkmcnt(0)                                       // 000000009A54: BF8CC07F
	v_max3_f32 v188, v172, v176, v188                          // 000000009A58: D1D300BC 06F361AC
	v_max3_f32 v189, v173, v177, v189                          // 000000009A60: D1D300BD 06F763AD
	v_max3_f32 v190, v174, v178, v190                          // 000000009A68: D1D300BE 06FB65AE
	v_max3_f32 v188, v180, v184, v188                          // 000000009A70: D1D300BC 06F371B4
	v_max3_f32 v189, v181, v185, v189                          // 000000009A78: D1D300BD 06F773B5
	v_max3_f32 v190, v182, v186, v190                          // 000000009A80: D1D300BE 06FB75B6
	v_rcp_f32_e32 v188, v188                                   // 000000009A88: 7F7845BC
	v_rcp_f32_e32 v189, v189                                   // 000000009A8C: 7F7A45BD
	v_rcp_f32_e32 v190, v190                                   // 000000009A90: 7F7C45BE
	v_mul_f32_e32 v188, 0x43700000, v188                       // 000000009A94: 0B7978FF 43700000
	v_mul_f32_e32 v189, 0x43700000, v189                       // 000000009A9C: 0B7B7AFF 43700000
	v_mul_f32_e32 v190, 0x43700000, v190                       // 000000009AA4: 0B7D7CFF 43700000
	v_mov_b32_e32 v192, v190                                   // 000000009AAC: 7F8003BE
	v_mov_b32_e32 v193, v190                                   // 000000009AB0: 7F8203BE
	v_mov_b32_e32 v190, v189                                   // 000000009AB4: 7F7C03BD
	v_mov_b32_e32 v191, v189                                   // 000000009AB8: 7F7E03BD
	v_mov_b32_e32 v189, v188                                   // 000000009ABC: 7F7A03BC
	v_pk_mul_f32 v[4:5], v[188:189], v[52:53]                  // 000000009AC0: D3B14004 180269BC
	v_pk_mul_f32 v[6:7], v[188:189], v[54:55]                  // 000000009AC8: D3B14006 18026DBC
	v_pk_mul_f32 v[8:9], v[188:189], v[56:57]                  // 000000009AD0: D3B14008 180271BC
	v_pk_mul_f32 v[10:11], v[188:189], v[58:59]                // 000000009AD8: D3B1400A 180275BC
	v_pk_mul_f32 v[12:13], v[188:189], v[60:61]                // 000000009AE0: D3B1400C 180279BC
	v_pk_mul_f32 v[14:15], v[188:189], v[62:63]                // 000000009AE8: D3B1400E 18027DBC
	v_pk_mul_f32 v[16:17], v[188:189], v[64:65]                // 000000009AF0: D3B14010 180281BC
	v_pk_mul_f32 v[18:19], v[188:189], v[66:67]                // 000000009AF8: D3B14012 180285BC
	v_pk_mul_f32 v[20:21], v[190:191], v[68:69]                // 000000009B00: D3B14014 180289BE
	v_pk_mul_f32 v[22:23], v[190:191], v[70:71]                // 000000009B08: D3B14016 18028DBE
	v_pk_mul_f32 v[24:25], v[190:191], v[72:73]                // 000000009B10: D3B14018 180291BE
	v_pk_mul_f32 v[26:27], v[190:191], v[74:75]                // 000000009B18: D3B1401A 180295BE
	v_pk_mul_f32 v[28:29], v[190:191], v[76:77]                // 000000009B20: D3B1401C 180299BE
	v_pk_mul_f32 v[30:31], v[190:191], v[78:79]                // 000000009B28: D3B1401E 18029DBE
	v_pk_mul_f32 v[32:33], v[190:191], v[80:81]                // 000000009B30: D3B14020 1802A1BE
	v_pk_mul_f32 v[34:35], v[190:191], v[82:83]                // 000000009B38: D3B14022 1802A5BE
	v_pk_mul_f32 v[36:37], v[192:193], v[84:85]                // 000000009B40: D3B14024 1802A9C0
	v_pk_mul_f32 v[38:39], v[192:193], v[86:87]                // 000000009B48: D3B14026 1802ADC0
	v_pk_mul_f32 v[40:41], v[192:193], v[88:89]                // 000000009B50: D3B14028 1802B1C0
	v_pk_mul_f32 v[42:43], v[192:193], v[90:91]                // 000000009B58: D3B1402A 1802B5C0
	v_cvt_pk_fp8_f32 v4, v4, v5                                // 000000009B60: D2A20004 00020B04
	v_cvt_pk_fp8_f32 v4, v6, v7 op_sel:[0,0,1]                 // 000000009B68: D2A24004 00020F06
	v_cvt_pk_fp8_f32 v5, v8, v9                                // 000000009B70: D2A20005 00021308
	v_cvt_pk_fp8_f32 v5, v10, v11 op_sel:[0,0,1]               // 000000009B78: D2A24005 0002170A
	v_cvt_pk_fp8_f32 v6, v12, v13                              // 000000009B80: D2A20006 00021B0C
	v_cvt_pk_fp8_f32 v6, v14, v15 op_sel:[0,0,1]               // 000000009B88: D2A24006 00021F0E
	v_cvt_pk_fp8_f32 v7, v16, v17                              // 000000009B90: D2A20007 00022310
	v_cvt_pk_fp8_f32 v7, v18, v19 op_sel:[0,0,1]               // 000000009B98: D2A24007 00022712
	v_cvt_pk_fp8_f32 v8, v20, v21                              // 000000009BA0: D2A20008 00022B14
	v_cvt_pk_fp8_f32 v8, v22, v23 op_sel:[0,0,1]               // 000000009BA8: D2A24008 00022F16
	v_cvt_pk_fp8_f32 v9, v24, v25                              // 000000009BB0: D2A20009 00023318
	v_cvt_pk_fp8_f32 v9, v26, v27 op_sel:[0,0,1]               // 000000009BB8: D2A24009 0002371A
	v_cvt_pk_fp8_f32 v10, v28, v29                             // 000000009BC0: D2A2000A 00023B1C
	v_cvt_pk_fp8_f32 v10, v30, v31 op_sel:[0,0,1]              // 000000009BC8: D2A2400A 00023F1E
	v_cvt_pk_fp8_f32 v11, v32, v33                             // 000000009BD0: D2A2000B 00024320
	v_cvt_pk_fp8_f32 v11, v34, v35 op_sel:[0,0,1]              // 000000009BD8: D2A2400B 00024722
	v_cvt_pk_fp8_f32 v12, v36, v37                             // 000000009BE0: D2A2000C 00024B24
	v_cvt_pk_fp8_f32 v12, v38, v39 op_sel:[0,0,1]              // 000000009BE8: D2A2400C 00024F26
	v_cvt_pk_fp8_f32 v13, v40, v41                             // 000000009BF0: D2A2000D 00025328
	v_cvt_pk_fp8_f32 v13, v42, v43 op_sel:[0,0,1]              // 000000009BF8: D2A2400D 0002572A
	v_mov_b32_dpp v14, v12 row_shl:8 row_mask:0xf bank_mask:0xf bound_ctrl:1// 000000009C00: 7E1C02FA FF09080C
	v_and_b32_e32 v12, v12, v224                               // 000000009C08: 2619C10C
	v_mov_b32_dpp v15, v13 row_shl:8 row_mask:0xf bank_mask:0xf bound_ctrl:1// 000000009C0C: 7E1E02FA FF09080D
	v_and_b32_e32 v13, v13, v224                               // 000000009C14: 261BC10D
	ds_write_b32 v254, v4 offset:8192                          // 000000009C18: D81A2000 000004FE
	ds_write_b32 v254, v5 offset:9216                          // 000000009C20: D81A2400 000005FE
	ds_write_b32 v254, v6 offset:10240                         // 000000009C28: D81A2800 000006FE
	ds_write_b32 v254, v7 offset:11264                         // 000000009C30: D81A2C00 000007FE
	ds_write_b32 v254, v8 offset:12288                         // 000000009C38: D81A3000 000008FE
	ds_write_b32 v254, v9 offset:13312                         // 000000009C40: D81A3400 000009FE
	ds_write_b32 v254, v10 offset:14336                        // 000000009C48: D81A3800 00000AFE
	ds_write_b32 v254, v11 offset:15360                        // 000000009C50: D81A3C00 00000BFE
	ds_write_b32 v254, v12 offset:16384                        // 000000009C58: D81A4000 00000CFE
	ds_write_b32 v254, v13 offset:17408                        // 000000009C60: D81A4400 00000DFE
	ds_write_b32 v254, v14 offset:18432                        // 000000009C68: D81A4800 00000EFE
	ds_write_b32 v254, v15 offset:19456                        // 000000009C70: D81A4C00 00000FFE
	v_rcp_f32_e32 v158, v188                                   // 000000009C78: 7F3C45BC
	v_rcp_f32_e32 v160, v190                                   // 000000009C7C: 7F4045BE
	v_rcp_f32_e32 v162, v192                                   // 000000009C80: 7F4445C0
	v_mov_b32_e32 v159, v158                                   // 000000009C84: 7F3E039E
	v_mov_b32_e32 v161, v160                                   // 000000009C88: 7F4203A0
	v_mov_b32_e32 v163, v162                                   // 000000009C8C: 7F4603A2
	v_pk_add_f32 v[124:125], v[124:125], v[100:101]            // 000000009C90: D3B2407C 1802C97C
	v_pk_add_f32 v[126:127], v[126:127], v[102:103]            // 000000009C98: D3B2407E 1802CD7E
	v_pk_add_f32 v[128:129], v[128:129], v[104:105]            // 000000009CA0: D3B24080 1802D180
	v_pk_add_f32 v[130:131], v[130:131], v[106:107]            // 000000009CA8: D3B24082 1802D582
	v_pk_add_f32 v[132:133], v[132:133], v[108:109]            // 000000009CB0: D3B24084 1802D984
	v_pk_add_f32 v[134:135], v[134:135], v[110:111]            // 000000009CB8: D3B24086 1802DD86
	v_pk_add_f32 v[136:137], v[136:137], v[112:113]            // 000000009CC0: D3B24088 1802E188
	v_pk_add_f32 v[138:139], v[138:139], v[114:115]            // 000000009CC8: D3B2408A 1802E58A
	v_pk_add_f32 v[140:141], v[140:141], v[116:117]            // 000000009CD0: D3B2408C 1802E98C
	v_pk_add_f32 v[142:143], v[142:143], v[118:119]            // 000000009CD8: D3B2408E 1802ED8E
	v_pk_add_f32 v[144:145], v[144:145], v[120:121]            // 000000009CE0: D3B24090 1802F190
	v_pk_add_f32 v[146:147], v[146:147], v[122:123]            // 000000009CE8: D3B24092 1802F592
	s_waitcnt lgkmcnt(0)                                       // 000000009CF0: BF8CC07F
	s_barrier                                                  // 000000009CF4: BF8A0000
	ds_read_b128 v[4:7], v255 offset:8192                      // 000000009CF8: D9FE2000 040000FF
	ds_read_b128 v[8:11], v255 offset:9216                     // 000000009D00: D9FE2400 080000FF
	ds_read_b128 v[12:15], v255 offset:10240                   // 000000009D08: D9FE2800 0C0000FF
	ds_read_b128 v[16:19], v255 offset:11264                   // 000000009D10: D9FE2C00 100000FF
	ds_read_b128 v[20:23], v255 offset:12288                   // 000000009D18: D9FE3000 140000FF
	ds_read_b128 v[24:27], v255 offset:13312                   // 000000009D20: D9FE3400 180000FF
	ds_read_b128 v[28:31], v255 offset:14336                   // 000000009D28: D9FE3800 1C0000FF
	ds_read_b128 v[32:35], v255 offset:15360                   // 000000009D30: D9FE3C00 200000FF
	ds_read_b128 v[36:39], v255 offset:16384                   // 000000009D38: D9FE4000 240000FF
	ds_read_b128 v[40:43], v255 offset:17408                   // 000000009D40: D9FE4400 280000FF
	ds_read_b128 v[44:47], v255 offset:18432                   // 000000009D48: D9FE4800 2C0000FF
	ds_read_b128 v[48:51], v255 offset:19456                   // 000000009D50: D9FE4C00 300000FF
	s_waitcnt vmcnt(10)                                        // 000000009D58: BF8C0F7A
	s_waitcnt lgkmcnt(11)                                      // 000000009D5C: BF8CCB7F
	v_mfma_f32_16x16x32_fp8_fp8 v[100:103], a[120:121], v[4:5], 0// 000000009D60: D3F30064 0A020978
	v_mfma_f32_16x16x32_fp8_fp8 v[104:107], a[136:137], v[4:5], 0// 000000009D68: D3F30068 0A020988
	v_mfma_f32_16x16x32_fp8_fp8 v[100:103], a[122:123], v[6:7], v[100:103]// 000000009D70: D3F30064 0D920D7A
	buffer_load_dwordx4 a[88:91], v234, s[16:19], 0 offen      // 000000009D78: E05C1000 808458EA
	v_mfma_f32_16x16x32_fp8_fp8 v[104:107], a[138:139], v[6:7], v[104:107]// 000000009D80: D3F30068 0DA20D8A
	s_waitcnt lgkmcnt(10)                                      // 000000009D88: BF8CCA7F
	v_mfma_f32_16x16x32_fp8_fp8 v[100:103], a[124:125], v[8:9], v[100:103]// 000000009D8C: D3F30064 0D92117C
	v_mfma_f32_16x16x32_fp8_fp8 v[104:107], a[140:141], v[8:9], v[104:107]// 000000009D94: D3F30068 0DA2118C
	v_mfma_f32_16x16x32_fp8_fp8 v[100:103], a[126:127], v[10:11], v[100:103]// 000000009D9C: D3F30064 0D92157E
	buffer_load_dwordx4 a[92:95], v235, s[16:19], 0 offen      // 000000009DA4: E05C1000 80845CEB
	v_mfma_f32_16x16x32_fp8_fp8 v[104:107], a[142:143], v[10:11], v[104:107]// 000000009DAC: D3F30068 0DA2158E
	s_waitcnt lgkmcnt(9)                                       // 000000009DB4: BF8CC97F
	v_mfma_f32_16x16x32_fp8_fp8 v[100:103], a[128:129], v[12:13], v[100:103]// 000000009DB8: D3F30064 0D921980
	v_mfma_f32_16x16x32_fp8_fp8 v[104:107], a[144:145], v[12:13], v[104:107]// 000000009DC0: D3F30068 0DA21990
	v_mfma_f32_16x16x32_fp8_fp8 v[100:103], a[130:131], v[14:15], v[100:103]// 000000009DC8: D3F30064 0D921D82
	buffer_load_dwordx4 a[96:99], v236, s[16:19], 0 offen      // 000000009DD0: E05C1000 808460EC
	v_mfma_f32_16x16x32_fp8_fp8 v[104:107], a[146:147], v[14:15], v[104:107]// 000000009DD8: D3F30068 0DA21D92
	s_waitcnt lgkmcnt(8)                                       // 000000009DE0: BF8CC87F
	v_mfma_f32_16x16x32_fp8_fp8 v[100:103], a[132:133], v[16:17], v[100:103]// 000000009DE4: D3F30064 0D922184
	v_mfma_f32_16x16x32_fp8_fp8 v[104:107], a[148:149], v[16:17], v[104:107]// 000000009DEC: D3F30068 0DA22194
	v_mfma_f32_16x16x32_fp8_fp8 v[100:103], a[134:135], v[18:19], v[100:103]// 000000009DF4: D3F30064 0D922586
	buffer_load_dwordx4 a[100:103], v237, s[16:19], 0 offen    // 000000009DFC: E05C1000 808464ED
	v_mfma_f32_16x16x32_fp8_fp8 v[104:107], a[150:151], v[18:19], v[104:107]// 000000009E04: D3F30068 0DA22596
	s_waitcnt lgkmcnt(7)                                       // 000000009E0C: BF8CC77F
	v_mfma_f32_16x16x32_fp8_fp8 v[108:111], a[120:121], v[20:21], 0// 000000009E10: D3F3006C 0A022978
	v_mfma_f32_16x16x32_fp8_fp8 v[112:115], a[136:137], v[20:21], 0// 000000009E18: D3F30070 0A022988
	v_mfma_f32_16x16x32_fp8_fp8 v[108:111], a[122:123], v[22:23], v[108:111]// 000000009E20: D3F3006C 0DB22D7A
	buffer_load_dwordx4 a[104:107], v234, s[16:19], 0 offen offset:1024// 000000009E28: E05C1400 808468EA
	v_mfma_f32_16x16x32_fp8_fp8 v[112:115], a[138:139], v[22:23], v[112:115]// 000000009E30: D3F30070 0DC22D8A
	s_waitcnt lgkmcnt(6)                                       // 000000009E38: BF8CC67F
	v_mfma_f32_16x16x32_fp8_fp8 v[108:111], a[124:125], v[24:25], v[108:111]// 000000009E3C: D3F3006C 0DB2317C
	v_mfma_f32_16x16x32_fp8_fp8 v[112:115], a[140:141], v[24:25], v[112:115]// 000000009E44: D3F30070 0DC2318C
	v_mfma_f32_16x16x32_fp8_fp8 v[108:111], a[126:127], v[26:27], v[108:111]// 000000009E4C: D3F3006C 0DB2357E
	buffer_load_dwordx4 a[108:111], v235, s[16:19], 0 offen offset:1024// 000000009E54: E05C1400 80846CEB
	v_mfma_f32_16x16x32_fp8_fp8 v[112:115], a[142:143], v[26:27], v[112:115]// 000000009E5C: D3F30070 0DC2358E
	s_waitcnt lgkmcnt(5)                                       // 000000009E64: BF8CC57F
	v_mfma_f32_16x16x32_fp8_fp8 v[108:111], a[128:129], v[28:29], v[108:111]// 000000009E68: D3F3006C 0DB23980
	v_mfma_f32_16x16x32_fp8_fp8 v[112:115], a[144:145], v[28:29], v[112:115]// 000000009E70: D3F30070 0DC23990
	v_mfma_f32_16x16x32_fp8_fp8 v[108:111], a[130:131], v[30:31], v[108:111]// 000000009E78: D3F3006C 0DB23D82
	buffer_load_dwordx4 a[112:115], v236, s[16:19], 0 offen offset:1024// 000000009E80: E05C1400 808470EC
	v_mfma_f32_16x16x32_fp8_fp8 v[112:115], a[146:147], v[30:31], v[112:115]// 000000009E88: D3F30070 0DC23D92
	s_waitcnt lgkmcnt(4)                                       // 000000009E90: BF8CC47F
	v_mfma_f32_16x16x32_fp8_fp8 v[108:111], a[132:133], v[32:33], v[108:111]// 000000009E94: D3F3006C 0DB24184
	v_mfma_f32_16x16x32_fp8_fp8 v[112:115], a[148:149], v[32:33], v[112:115]// 000000009E9C: D3F30070 0DC24194
	v_mfma_f32_16x16x32_fp8_fp8 v[108:111], a[134:135], v[34:35], v[108:111]// 000000009EA4: D3F3006C 0DB24586
	buffer_load_dwordx4 a[116:119], v237, s[16:19], 0 offen offset:1024// 000000009EAC: E05C1400 808474ED
	v_mfma_f32_16x16x32_fp8_fp8 v[112:115], a[150:151], v[34:35], v[112:115]// 000000009EB4: D3F30070 0DC24596
	s_waitcnt lgkmcnt(3)                                       // 000000009EBC: BF8CC37F
	v_mfma_f32_16x16x32_fp8_fp8 v[116:119], a[120:121], v[36:37], 0// 000000009EC0: D3F30074 0A024978
	v_mfma_f32_16x16x32_fp8_fp8 v[120:123], a[136:137], v[36:37], 0// 000000009EC8: D3F30078 0A024988
	v_mfma_f32_16x16x32_fp8_fp8 v[116:119], a[122:123], v[38:39], v[116:119]// 000000009ED0: D3F30074 0DD24D7A
	v_mfma_f32_16x16x32_fp8_fp8 v[120:123], a[138:139], v[38:39], v[120:123]// 000000009ED8: D3F30078 0DE24D8A
	s_waitcnt lgkmcnt(2)                                       // 000000009EE0: BF8CC27F
	v_mfma_f32_16x16x32_fp8_fp8 v[116:119], a[124:125], v[40:41], v[116:119]// 000000009EE4: D3F30074 0DD2517C
	v_mfma_f32_16x16x32_fp8_fp8 v[120:123], a[140:141], v[40:41], v[120:123]// 000000009EEC: D3F30078 0DE2518C
	v_mfma_f32_16x16x32_fp8_fp8 v[116:119], a[126:127], v[42:43], v[116:119]// 000000009EF4: D3F30074 0DD2557E
	v_mfma_f32_16x16x32_fp8_fp8 v[120:123], a[142:143], v[42:43], v[120:123]// 000000009EFC: D3F30078 0DE2558E
	s_waitcnt lgkmcnt(1)                                       // 000000009F04: BF8CC17F
	v_mfma_f32_16x16x32_fp8_fp8 v[116:119], a[128:129], v[44:45], v[116:119]// 000000009F08: D3F30074 0DD25980
	v_mfma_f32_16x16x32_fp8_fp8 v[120:123], a[144:145], v[44:45], v[120:123]// 000000009F10: D3F30078 0DE25990
	v_mfma_f32_16x16x32_fp8_fp8 v[116:119], a[130:131], v[46:47], v[116:119]// 000000009F18: D3F30074 0DD25D82
	v_mfma_f32_16x16x32_fp8_fp8 v[120:123], a[146:147], v[46:47], v[120:123]// 000000009F20: D3F30078 0DE25D92
	s_waitcnt lgkmcnt(0)                                       // 000000009F28: BF8CC07F
	v_mfma_f32_16x16x32_fp8_fp8 v[116:119], a[132:133], v[48:49], v[116:119]// 000000009F2C: D3F30074 0DD26184
	v_mfma_f32_16x16x32_fp8_fp8 v[120:123], a[148:149], v[48:49], v[120:123]// 000000009F34: D3F30078 0DE26194
	v_mfma_f32_16x16x32_fp8_fp8 v[116:119], a[134:135], v[50:51], v[116:119]// 000000009F3C: D3F30074 0DD26586
	v_mfma_f32_16x16x32_fp8_fp8 v[120:123], a[150:151], v[50:51], v[120:123]// 000000009F44: D3F30078 0DE26596
	s_addk_i32 s64, 0x100                                      // 000000009F4C: B7400100
	s_cmp_lt_i32 s64, s63                                      // 000000009F50: BF043F40
	s_cbranch_scc0 label_3536                                  // 000000009F54: BF841760
	s_waitcnt vmcnt(10)                                        // 000000009F58: BF8C0F7A
	v_mfma_f32_16x16x32_fp8_fp8 v[4:7], a[24:25], a[0:1], 0    // 000000009F5C: D3F30004 1A020118
	s_add_u32 s12, s86, s69                                    // 000000009F64: 800C4556
	s_addc_u32 s13, s87, 0                                     // 000000009F68: 820D8057
	v_mfma_f32_16x16x32_fp8_fp8 v[4:7], a[26:27], a[2:3], v[4:7]// 000000009F6C: D3F30004 1C12051A
	s_add_u32 s16, s88, s70                                    // 000000009F74: 80104658
	s_addc_u32 s17, s89, 0                                     // 000000009F78: 82118059
	v_mfma_f32_16x16x32_fp8_fp8 v[4:7], a[28:29], a[4:5], v[4:7]// 000000009F7C: D3F30004 1C12091C
	buffer_load_dwordx4 a[56:59], v232, s[12:15], 0 offen      // 000000009F84: E05C1000 808338E8
	v_mfma_f32_16x16x32_fp8_fp8 v[4:7], a[30:31], a[6:7], v[4:7]// 000000009F8C: D3F30004 1C120D1E
	s_add_u32 s20, s90, s71                                    // 000000009F94: 8014475A
	s_addc_u32 s21, s91, 0                                     // 000000009F98: 8215805B
	v_mfma_f32_16x16x32_fp8_fp8 v[8:11], a[32:33], a[0:1], 0   // 000000009F9C: D3F30008 1A020120
	s_add_u32 s24, s92, s71                                    // 000000009FA4: 8018475C
	s_addc_u32 s25, s93, 0                                     // 000000009FA8: 8219805D
	v_mfma_f32_16x16x32_fp8_fp8 v[8:11], a[34:35], a[2:3], v[8:11]// 000000009FAC: D3F30008 1C220522
	s_mul_i32 s69, s59, s50                                    // 000000009FB4: 9245323B
	s_mul_i32 s71, s59, s66                                    // 000000009FB8: 9247423B
	v_mfma_f32_16x16x32_fp8_fp8 v[8:11], a[36:37], a[4:5], v[8:11]// 000000009FBC: D3F30008 1C220924
	buffer_load_dwordx4 a[60:63], v233, s[12:15], 0 offen      // 000000009FC4: E05C1000 80833CE9
	v_mfma_f32_16x16x32_fp8_fp8 v[8:11], a[38:39], a[6:7], v[8:11]// 000000009FCC: D3F30008 1C220D26
	s_mul_i32 s54, s78, s51                                    // 000000009FD4: 9236334E
	s_add_u32 s69, s69, s54                                    // 000000009FD8: 80453645
	v_mfma_f32_16x16x32_fp8_fp8 v[12:15], a[40:41], a[0:1], 0  // 000000009FDC: D3F3000C 1A020128
	s_mov_b32 s70, s69                                         // 000000009FE4: BEC60045
	v_mfma_f32_16x16x32_fp8_fp8 v[12:15], a[42:43], a[2:3], v[12:15]// 000000009FE8: D3F3000C 1C32052A
	s_mul_i32 s54, s78, s101                                   // 000000009FF0: 9236654E
	s_add_u32 s71, s71, s54                                    // 000000009FF4: 80473647
	v_mfma_f32_16x16x32_fp8_fp8 v[12:15], a[44:45], a[4:5], v[12:15]// 000000009FF8: D3F3000C 1C32092C
	buffer_load_dwordx4 a[64:67], v232, s[12:15], 0 offen offset:1024// 00000000A000: E05C1400 808340E8
	v_mfma_f32_16x16x32_fp8_fp8 v[12:15], a[46:47], a[6:7], v[12:15]// 00000000A008: D3F3000C 1C320D2E
	v_mfma_f32_16x16x32_fp8_fp8 v[16:19], a[48:49], a[0:1], 0  // 00000000A010: D3F30010 1A020130
	v_mfma_f32_16x16x32_fp8_fp8 v[16:19], a[50:51], a[2:3], v[16:19]// 00000000A018: D3F30010 1C420532
	v_mfma_f32_16x16x32_fp8_fp8 v[16:19], a[52:53], a[4:5], v[16:19]// 00000000A020: D3F30010 1C420934
	buffer_load_dwordx4 a[68:71], v233, s[12:15], 0 offen offset:1024// 00000000A028: E05C1400 808344E9
	v_mfma_f32_16x16x32_fp8_fp8 v[16:19], a[54:55], a[6:7], v[16:19]// 00000000A030: D3F30010 1C420D36
	v_mfma_f32_16x16x32_fp8_fp8 v[20:23], a[24:25], a[8:9], 0  // 00000000A038: D3F30014 1A021118
	v_mfma_f32_16x16x32_fp8_fp8 v[20:23], a[26:27], a[10:11], v[20:23]// 00000000A040: D3F30014 1C52151A
	v_mfma_f32_16x16x32_fp8_fp8 v[20:23], a[28:29], a[12:13], v[20:23]// 00000000A048: D3F30014 1C52191C
	buffer_load_dwordx4 a[72:75], v232, s[12:15], 0 offen offset:2048// 00000000A050: E05C1800 808348E8
	v_mfma_f32_16x16x32_fp8_fp8 v[20:23], a[30:31], a[14:15], v[20:23]// 00000000A058: D3F30014 1C521D1E
	v_mfma_f32_16x16x32_fp8_fp8 v[24:27], a[32:33], a[8:9], 0  // 00000000A060: D3F30018 1A021120
	v_mfma_f32_16x16x32_fp8_fp8 v[24:27], a[34:35], a[10:11], v[24:27]// 00000000A068: D3F30018 1C621522
	v_mfma_f32_16x16x32_fp8_fp8 v[24:27], a[36:37], a[12:13], v[24:27]// 00000000A070: D3F30018 1C621924
	buffer_load_dwordx4 a[76:79], v233, s[12:15], 0 offen offset:2048// 00000000A078: E05C1800 80834CE9
	v_mfma_f32_16x16x32_fp8_fp8 v[24:27], a[38:39], a[14:15], v[24:27]// 00000000A080: D3F30018 1C621D26
	v_mfma_f32_16x16x32_fp8_fp8 v[28:31], a[40:41], a[8:9], 0  // 00000000A088: D3F3001C 1A021128
	v_mfma_f32_16x16x32_fp8_fp8 v[28:31], a[42:43], a[10:11], v[28:31]// 00000000A090: D3F3001C 1C72152A
	v_mfma_f32_16x16x32_fp8_fp8 v[28:31], a[44:45], a[12:13], v[28:31]// 00000000A098: D3F3001C 1C72192C
	buffer_load_dwordx4 a[80:83], v232, s[12:15], 0 offen offset:3072// 00000000A0A0: E05C1C00 808350E8
	v_mfma_f32_16x16x32_fp8_fp8 v[28:31], a[46:47], a[14:15], v[28:31]// 00000000A0A8: D3F3001C 1C721D2E
	v_mfma_f32_16x16x32_fp8_fp8 v[32:35], a[48:49], a[8:9], 0  // 00000000A0B0: D3F30020 1A021130
	v_mfma_f32_16x16x32_fp8_fp8 v[32:35], a[50:51], a[10:11], v[32:35]// 00000000A0B8: D3F30020 1C821532
	v_mfma_f32_16x16x32_fp8_fp8 v[32:35], a[52:53], a[12:13], v[32:35]// 00000000A0C0: D3F30020 1C821934
	buffer_load_dwordx4 a[84:87], v233, s[12:15], 0 offen offset:3072// 00000000A0C8: E05C1C00 808354E9
	v_mfma_f32_16x16x32_fp8_fp8 v[32:35], a[54:55], a[14:15], v[32:35]// 00000000A0D0: D3F30020 1C821D36
	v_mfma_f32_16x16x32_fp8_fp8 v[36:39], a[24:25], a[16:17], 0// 00000000A0D8: D3F30024 1A022118
	v_mfma_f32_16x16x32_fp8_fp8 v[36:39], a[26:27], a[18:19], v[36:39]// 00000000A0E0: D3F30024 1C92251A
	v_mfma_f32_16x16x32_fp8_fp8 v[36:39], a[28:29], a[20:21], v[36:39]// 00000000A0E8: D3F30024 1C92291C
	v_mfma_f32_16x16x32_fp8_fp8 v[36:39], a[30:31], a[22:23], v[36:39]// 00000000A0F0: D3F30024 1C922D1E
	v_mfma_f32_16x16x32_fp8_fp8 v[40:43], a[32:33], a[16:17], 0// 00000000A0F8: D3F30028 1A022120
	v_mfma_f32_16x16x32_fp8_fp8 v[40:43], a[34:35], a[18:19], v[40:43]// 00000000A100: D3F30028 1CA22522
	v_mfma_f32_16x16x32_fp8_fp8 v[40:43], a[36:37], a[20:21], v[40:43]// 00000000A108: D3F30028 1CA22924
	v_mfma_f32_16x16x32_fp8_fp8 v[40:43], a[38:39], a[22:23], v[40:43]// 00000000A110: D3F30028 1CA22D26
	v_mfma_f32_16x16x32_fp8_fp8 v[44:47], a[40:41], a[16:17], 0// 00000000A118: D3F3002C 1A022128
	v_mfma_f32_16x16x32_fp8_fp8 v[44:47], a[42:43], a[18:19], v[44:47]// 00000000A120: D3F3002C 1CB2252A
	v_mfma_f32_16x16x32_fp8_fp8 v[44:47], a[44:45], a[20:21], v[44:47]// 00000000A128: D3F3002C 1CB2292C
	v_mfma_f32_16x16x32_fp8_fp8 v[44:47], a[46:47], a[22:23], v[44:47]// 00000000A130: D3F3002C 1CB22D2E
	v_mfma_f32_16x16x32_fp8_fp8 v[48:51], a[48:49], a[16:17], 0// 00000000A138: D3F30030 1A022130
	v_mfma_f32_16x16x32_fp8_fp8 v[48:51], a[50:51], a[18:19], v[48:51]// 00000000A140: D3F30030 1CC22532
	v_mfma_f32_16x16x32_fp8_fp8 v[48:51], a[52:53], a[20:21], v[48:51]// 00000000A148: D3F30030 1CC22934
	v_mfma_f32_16x16x32_fp8_fp8 v[48:51], a[54:55], a[22:23], v[48:51]// 00000000A150: D3F30030 1CC22D36
	s_waitcnt vmcnt(16)                                        // 00000000A158: BF8C4F70
	v_or_b32_dpp v36, v44, v36 row_shr:8 row_mask:0xf bank_mask:0xf bound_ctrl:1// 00000000A15C: 284848FA FF09182C
	v_or_b32_dpp v37, v45, v37 row_shr:8 row_mask:0xf bank_mask:0xf bound_ctrl:1// 00000000A164: 284A4AFA FF09182D
	v_or_b32_dpp v38, v46, v38 row_shr:8 row_mask:0xf bank_mask:0xf bound_ctrl:1// 00000000A16C: 284C4CFA FF09182E
	v_or_b32_dpp v39, v47, v39 row_shr:8 row_mask:0xf bank_mask:0xf bound_ctrl:1// 00000000A174: 284E4EFA FF09182F
	v_or_b32_dpp v40, v48, v40 row_shr:8 row_mask:0xf bank_mask:0xf bound_ctrl:1// 00000000A17C: 285050FA FF091830
	v_or_b32_dpp v41, v49, v41 row_shr:8 row_mask:0xf bank_mask:0xf bound_ctrl:1// 00000000A184: 285252FA FF091831
	v_or_b32_dpp v42, v50, v42 row_shr:8 row_mask:0xf bank_mask:0xf bound_ctrl:1// 00000000A18C: 285454FA FF091832
	v_or_b32_dpp v43, v51, v43 row_shr:8 row_mask:0xf bank_mask:0xf bound_ctrl:1// 00000000A194: 285656FA FF091833
	v_mov_b32_dpp v168, v154 row_shr:4 row_mask:0xf bank_mask:0xf// 00000000A19C: 7F5002FA FF01149A
	v_mov_b32_dpp v169, v154 row_shl:4 row_mask:0xf bank_mask:0xf// 00000000A1A4: 7F5202FA FF01049A
	v_cndmask_b32_e64 v164, v154, v168, s[2:3]                 // 00000000A1AC: D10000A4 000B519A
	v_cndmask_b32_e64 v165, v169, v154, s[2:3]                 // 00000000A1B4: D10000A5 000B35A9
	v_mov_b32_dpp v168, v156 row_shr:4 row_mask:0xf bank_mask:0xf// 00000000A1BC: 7F5002FA FF01149C
	v_mov_b32_dpp v169, v156 row_shl:4 row_mask:0xf bank_mask:0xf// 00000000A1C4: 7F5202FA FF01049C
	v_cndmask_b32_e64 v166, v156, v168, s[2:3]                 // 00000000A1CC: D10000A6 000B519C
	v_cndmask_b32_e64 v167, v169, v156, s[2:3]                 // 00000000A1D4: D10000A7 000B39A9
	v_pk_mul_f32 v[4:5], v[148:149], v[4:5]                    // 00000000A1DC: D3B14004 18020994
	v_pk_mul_f32 v[6:7], v[148:149], v[6:7]                    // 00000000A1E4: D3B14006 18020D94
	v_pk_mul_f32 v[8:9], v[148:149], v[8:9]                    // 00000000A1EC: D3B14008 18021194
	v_pk_mul_f32 v[10:11], v[148:149], v[10:11]                // 00000000A1F4: D3B1400A 18021594
	v_pk_mul_f32 v[12:13], v[148:149], v[12:13]                // 00000000A1FC: D3B1400C 18021994
	v_pk_mul_f32 v[14:15], v[148:149], v[14:15]                // 00000000A204: D3B1400E 18021D94
	v_pk_mul_f32 v[16:17], v[148:149], v[16:17]                // 00000000A20C: D3B14010 18022194
	v_pk_mul_f32 v[18:19], v[148:149], v[18:19]                // 00000000A214: D3B14012 18022594
	v_mul_f32_dpp v4, v154, v4 row_newbcast:0 row_mask:0xf bank_mask:0xf// 00000000A21C: 0A0808FA FF01509A
	v_mul_f32_dpp v5, v154, v5 row_newbcast:1 row_mask:0xf bank_mask:0xf// 00000000A224: 0A0A0AFA FF01519A
	v_mul_f32_dpp v6, v154, v6 row_newbcast:2 row_mask:0xf bank_mask:0xf// 00000000A22C: 0A0C0CFA FF01529A
	v_mul_f32_dpp v7, v154, v7 row_newbcast:3 row_mask:0xf bank_mask:0xf// 00000000A234: 0A0E0EFA FF01539A
	v_mul_f32_dpp v8, v154, v8 row_newbcast:4 row_mask:0xf bank_mask:0xf// 00000000A23C: 0A1010FA FF01549A
	v_mul_f32_dpp v9, v154, v9 row_newbcast:5 row_mask:0xf bank_mask:0xf// 00000000A244: 0A1212FA FF01559A
	v_mul_f32_dpp v10, v154, v10 row_newbcast:6 row_mask:0xf bank_mask:0xf// 00000000A24C: 0A1414FA FF01569A
	v_mul_f32_dpp v11, v154, v11 row_newbcast:7 row_mask:0xf bank_mask:0xf// 00000000A254: 0A1616FA FF01579A
	v_mul_f32_dpp v12, v154, v12 row_newbcast:8 row_mask:0xf bank_mask:0xf// 00000000A25C: 0A1818FA FF01589A
	v_mul_f32_dpp v13, v154, v13 row_newbcast:9 row_mask:0xf bank_mask:0xf// 00000000A264: 0A1A1AFA FF01599A
	v_mul_f32_dpp v14, v154, v14 row_newbcast:10 row_mask:0xf bank_mask:0xf// 00000000A26C: 0A1C1CFA FF015A9A
	v_mul_f32_dpp v15, v154, v15 row_newbcast:11 row_mask:0xf bank_mask:0xf// 00000000A274: 0A1E1EFA FF015B9A
	v_mul_f32_dpp v16, v154, v16 row_newbcast:12 row_mask:0xf bank_mask:0xf// 00000000A27C: 0A2020FA FF015C9A
	v_mul_f32_dpp v17, v154, v17 row_newbcast:13 row_mask:0xf bank_mask:0xf// 00000000A284: 0A2222FA FF015D9A
	v_mul_f32_dpp v18, v154, v18 row_newbcast:14 row_mask:0xf bank_mask:0xf// 00000000A28C: 0A2424FA FF015E9A
	v_mul_f32_dpp v19, v154, v19 row_newbcast:15 row_mask:0xf bank_mask:0xf// 00000000A294: 0A2626FA FF015F9A
	v_pk_mul_f32 v[20:21], v[150:151], v[20:21]                // 00000000A29C: D3B14014 18022996
	v_pk_mul_f32 v[22:23], v[150:151], v[22:23]                // 00000000A2A4: D3B14016 18022D96
	v_pk_mul_f32 v[24:25], v[150:151], v[24:25]                // 00000000A2AC: D3B14018 18023196
	v_pk_mul_f32 v[26:27], v[150:151], v[26:27]                // 00000000A2B4: D3B1401A 18023596
	v_pk_mul_f32 v[28:29], v[150:151], v[28:29]                // 00000000A2BC: D3B1401C 18023996
	v_pk_mul_f32 v[30:31], v[150:151], v[30:31]                // 00000000A2C4: D3B1401E 18023D96
	v_pk_mul_f32 v[32:33], v[150:151], v[32:33]                // 00000000A2CC: D3B14020 18024196
	v_pk_mul_f32 v[34:35], v[150:151], v[34:35]                // 00000000A2D4: D3B14022 18024596
	v_mul_f32_dpp v20, v154, v20 row_newbcast:0 row_mask:0xf bank_mask:0xf// 00000000A2DC: 0A2828FA FF01509A
	v_mul_f32_dpp v21, v154, v21 row_newbcast:1 row_mask:0xf bank_mask:0xf// 00000000A2E4: 0A2A2AFA FF01519A
	v_mul_f32_dpp v22, v154, v22 row_newbcast:2 row_mask:0xf bank_mask:0xf// 00000000A2EC: 0A2C2CFA FF01529A
	v_mul_f32_dpp v23, v154, v23 row_newbcast:3 row_mask:0xf bank_mask:0xf// 00000000A2F4: 0A2E2EFA FF01539A
	v_mul_f32_dpp v24, v154, v24 row_newbcast:4 row_mask:0xf bank_mask:0xf// 00000000A2FC: 0A3030FA FF01549A
	v_mul_f32_dpp v25, v154, v25 row_newbcast:5 row_mask:0xf bank_mask:0xf// 00000000A304: 0A3232FA FF01559A
	v_mul_f32_dpp v26, v154, v26 row_newbcast:6 row_mask:0xf bank_mask:0xf// 00000000A30C: 0A3434FA FF01569A
	v_mul_f32_dpp v27, v154, v27 row_newbcast:7 row_mask:0xf bank_mask:0xf// 00000000A314: 0A3636FA FF01579A
	v_mul_f32_dpp v28, v154, v28 row_newbcast:8 row_mask:0xf bank_mask:0xf// 00000000A31C: 0A3838FA FF01589A
	v_mul_f32_dpp v29, v154, v29 row_newbcast:9 row_mask:0xf bank_mask:0xf// 00000000A324: 0A3A3AFA FF01599A
	v_mul_f32_dpp v30, v154, v30 row_newbcast:10 row_mask:0xf bank_mask:0xf// 00000000A32C: 0A3C3CFA FF015A9A
	v_mul_f32_dpp v31, v154, v31 row_newbcast:11 row_mask:0xf bank_mask:0xf// 00000000A334: 0A3E3EFA FF015B9A
	v_mul_f32_dpp v32, v154, v32 row_newbcast:12 row_mask:0xf bank_mask:0xf// 00000000A33C: 0A4040FA FF015C9A
	v_mul_f32_dpp v33, v154, v33 row_newbcast:13 row_mask:0xf bank_mask:0xf// 00000000A344: 0A4242FA FF015D9A
	v_mul_f32_dpp v34, v154, v34 row_newbcast:14 row_mask:0xf bank_mask:0xf// 00000000A34C: 0A4444FA FF015E9A
	v_mul_f32_dpp v35, v154, v35 row_newbcast:15 row_mask:0xf bank_mask:0xf// 00000000A354: 0A4646FA FF015F9A
	v_pk_mul_f32 v[36:37], v[152:153], v[36:37]                // 00000000A35C: D3B14024 18024998
	v_pk_mul_f32 v[38:39], v[152:153], v[38:39]                // 00000000A364: D3B14026 18024D98
	v_pk_mul_f32 v[40:41], v[152:153], v[40:41]                // 00000000A36C: D3B14028 18025198
	v_pk_mul_f32 v[42:43], v[152:153], v[42:43]                // 00000000A374: D3B1402A 18025598
	v_mul_f32_dpp v36, v164, v36 quad_perm:[0,0,0,0] row_mask:0xf bank_mask:0xf// 00000000A37C: 0A4848FA FF0000A4
	v_mul_f32_dpp v37, v164, v37 quad_perm:[1,1,1,1] row_mask:0xf bank_mask:0xf// 00000000A384: 0A4A4AFA FF0055A4
	v_mul_f32_dpp v38, v164, v38 quad_perm:[2,2,2,2] row_mask:0xf bank_mask:0xf// 00000000A38C: 0A4C4CFA FF00AAA4
	v_mul_f32_dpp v39, v164, v39 quad_perm:[3,3,3,3] row_mask:0xf bank_mask:0xf// 00000000A394: 0A4E4EFA FF00FFA4
	v_mul_f32_dpp v40, v165, v40 quad_perm:[0,0,0,0] row_mask:0xf bank_mask:0xf// 00000000A39C: 0A5050FA FF0000A5
	v_mul_f32_dpp v41, v165, v41 quad_perm:[1,1,1,1] row_mask:0xf bank_mask:0xf// 00000000A3A4: 0A5252FA FF0055A5
	v_mul_f32_dpp v42, v165, v42 quad_perm:[2,2,2,2] row_mask:0xf bank_mask:0xf// 00000000A3AC: 0A5454FA FF00AAA5
	v_mul_f32_dpp v43, v165, v43 quad_perm:[3,3,3,3] row_mask:0xf bank_mask:0xf// 00000000A3B4: 0A5656FA FF00FFA5
	v_mov_b32_e32 v190, v36                                    // 00000000A3BC: 7F7C0324
	v_max3_f32 v190, v36, v37, v190                            // 00000000A3C0: D1D300BE 06FA4B24
	v_max3_f32 v190, v38, v39, v190                            // 00000000A3C8: D1D300BE 06FA4F26
	v_max3_f32 v190, v40, v41, v190                            // 00000000A3D0: D1D300BE 06FA5328
	v_max3_f32 v190, v42, v43, v190                            // 00000000A3D8: D1D300BE 06FA572A
	v_mov_b32_e32 v189, v20                                    // 00000000A3E0: 7F7A0314
	v_max3_f32 v189, v20, v21, v189                            // 00000000A3E4: D1D300BD 06F62B14
	v_max3_f32 v189, v22, v23, v189                            // 00000000A3EC: D1D300BD 06F62F16
	v_max3_f32 v189, v24, v25, v189                            // 00000000A3F4: D1D300BD 06F63318
	v_max3_f32 v189, v26, v27, v189                            // 00000000A3FC: D1D300BD 06F6371A
	v_max3_f32 v189, v28, v29, v189                            // 00000000A404: D1D300BD 06F63B1C
	v_max3_f32 v189, v30, v31, v189                            // 00000000A40C: D1D300BD 06F63F1E
	v_max3_f32 v189, v32, v33, v189                            // 00000000A414: D1D300BD 06F64320
	v_max3_f32 v189, v34, v35, v189                            // 00000000A41C: D1D300BD 06F64722
	v_mov_b32_e32 v188, v4                                     // 00000000A424: 7F780304
	v_max3_f32 v188, v4, v5, v188                              // 00000000A428: D1D300BC 06F20B04
	v_max3_f32 v188, v6, v7, v188                              // 00000000A430: D1D300BC 06F20F06
	v_max3_f32 v188, v8, v9, v188                              // 00000000A438: D1D300BC 06F21308
	v_max3_f32 v188, v10, v11, v188                            // 00000000A440: D1D300BC 06F2170A
	v_max3_f32 v188, v12, v13, v188                            // 00000000A448: D1D300BC 06F21B0C
	v_max3_f32 v188, v14, v15, v188                            // 00000000A450: D1D300BC 06F21F0E
	v_max3_f32 v188, v16, v17, v188                            // 00000000A458: D1D300BC 06F22310
	v_max3_f32 v188, v18, v19, v188                            // 00000000A460: D1D300BC 06F22712
	v_max_f32_dpp v190, v190, v190 row_ror:8 row_mask:0xf bank_mask:0xf// 00000000A468: 177D7CFA FF0128BE
	v_pk_mul_f32 v[124:125], v[200:201], v[124:125]            // 00000000A470: D3B1407C 1802F9C8
	v_pk_mul_f32 v[126:127], v[200:201], v[126:127]            // 00000000A478: D3B1407E 1802FDC8
	v_pk_mul_f32 v[128:129], v[200:201], v[128:129]            // 00000000A480: D3B14080 180301C8
	v_pk_mul_f32 v[130:131], v[200:201], v[130:131]            // 00000000A488: D3B14082 180305C8
	v_pk_mul_f32 v[132:133], v[202:203], v[132:133]            // 00000000A490: D3B14084 180309CA
	v_pk_mul_f32 v[134:135], v[202:203], v[134:135]            // 00000000A498: D3B14086 18030DCA
	v_pk_mul_f32 v[136:137], v[202:203], v[136:137]            // 00000000A4A0: D3B14088 180311CA
	v_pk_mul_f32 v[138:139], v[202:203], v[138:139]            // 00000000A4A8: D3B1408A 180315CA
	v_pk_mul_f32 v[140:141], v[204:205], v[140:141]            // 00000000A4B0: D3B1408C 180319CC
	v_pk_mul_f32 v[142:143], v[204:205], v[142:143]            // 00000000A4B8: D3B1408E 18031DCC
	v_pk_mul_f32 v[144:145], v[204:205], v[144:145]            // 00000000A4C0: D3B14090 180321CC
	v_pk_mul_f32 v[146:147], v[204:205], v[146:147]            // 00000000A4C8: D3B14092 180325CC
	ds_bpermute_b32 v172, v212, v188                           // 00000000A4D0: D87E0000 AC00BCD4
	ds_bpermute_b32 v173, v213, v188                           // 00000000A4D8: D87E0000 AD00BCD5
	ds_bpermute_b32 v174, v214, v188                           // 00000000A4E0: D87E0000 AE00BCD6
	ds_bpermute_b32 v175, v212, v189                           // 00000000A4E8: D87E0000 AF00BDD4
	ds_bpermute_b32 v176, v213, v189                           // 00000000A4F0: D87E0000 B000BDD5
	ds_bpermute_b32 v177, v214, v189                           // 00000000A4F8: D87E0000 B100BDD6
	ds_bpermute_b32 v178, v212, v190                           // 00000000A500: D87E0000 B200BED4
	ds_bpermute_b32 v179, v213, v190                           // 00000000A508: D87E0000 B300BED5
	ds_bpermute_b32 v180, v214, v190                           // 00000000A510: D87E0000 B400BED6
	s_waitcnt lgkmcnt(6)                                       // 00000000A518: BF8CC67F
	v_max3_f32 v188, v172, v173, v188                          // 00000000A51C: D1D300BC 06F35BAC
	v_max_f32_e32 v188, v174, v188                             // 00000000A524: 177979AE
	s_waitcnt lgkmcnt(3)                                       // 00000000A528: BF8CC37F
	v_max3_f32 v189, v175, v176, v189                          // 00000000A52C: D1D300BD 06F761AF
	v_max_f32_e32 v189, v177, v189                             // 00000000A534: 177B7BB1
	s_waitcnt lgkmcnt(0)                                       // 00000000A538: BF8CC07F
	v_max3_f32 v190, v178, v179, v190                          // 00000000A53C: D1D300BE 06FB67B2
	v_max_f32_e32 v190, v180, v190                             // 00000000A544: 177D7DB4
	ds_write_b128 v252, v[188:191]                             // 00000000A548: D9BE0000 0000BCFC
	s_waitcnt lgkmcnt(0)                                       // 00000000A550: BF8CC07F
	s_barrier                                                  // 00000000A554: BF8A0000
	v_pk_mul_f32 v[100:101], v[158:159], v[100:101]            // 00000000A558: D3B14064 1802C99E
	v_pk_mul_f32 v[102:103], v[158:159], v[102:103]            // 00000000A560: D3B14066 1802CD9E
	v_pk_mul_f32 v[104:105], v[158:159], v[104:105]            // 00000000A568: D3B14068 1802D19E
	v_pk_mul_f32 v[106:107], v[158:159], v[106:107]            // 00000000A570: D3B1406A 1802D59E
	v_pk_mul_f32 v[108:109], v[160:161], v[108:109]            // 00000000A578: D3B1406C 1802D9A0
	v_pk_mul_f32 v[110:111], v[160:161], v[110:111]            // 00000000A580: D3B1406E 1802DDA0
	v_pk_mul_f32 v[112:113], v[160:161], v[112:113]            // 00000000A588: D3B14070 1802E1A0
	v_pk_mul_f32 v[114:115], v[160:161], v[114:115]            // 00000000A590: D3B14072 1802E5A0
	v_pk_mul_f32 v[116:117], v[162:163], v[116:117]            // 00000000A598: D3B14074 1802E9A2
	v_pk_mul_f32 v[118:119], v[162:163], v[118:119]            // 00000000A5A0: D3B14076 1802EDA2
	v_pk_mul_f32 v[120:121], v[162:163], v[120:121]            // 00000000A5A8: D3B14078 1802F1A2
	v_pk_mul_f32 v[122:123], v[162:163], v[122:123]            // 00000000A5B0: D3B1407A 1802F5A2
	ds_read_b128 v[172:175], v253                              // 00000000A5B8: D9FE0000 AC0000FD
	ds_read_b128 v[176:179], v253 offset:256                   // 00000000A5C0: D9FE0100 B00000FD
	ds_read_b128 v[180:183], v253 offset:512                   // 00000000A5C8: D9FE0200 B40000FD
	ds_read_b128 v[184:187], v253 offset:768                   // 00000000A5D0: D9FE0300 B80000FD
	s_waitcnt lgkmcnt(0)                                       // 00000000A5D8: BF8CC07F
	v_max3_f32 v188, v172, v176, v188                          // 00000000A5DC: D1D300BC 06F361AC
	v_max3_f32 v189, v173, v177, v189                          // 00000000A5E4: D1D300BD 06F763AD
	v_max3_f32 v190, v174, v178, v190                          // 00000000A5EC: D1D300BE 06FB65AE
	v_max3_f32 v188, v180, v184, v188                          // 00000000A5F4: D1D300BC 06F371B4
	v_max3_f32 v189, v181, v185, v189                          // 00000000A5FC: D1D300BD 06F773B5
	v_max3_f32 v190, v182, v186, v190                          // 00000000A604: D1D300BE 06FB75B6
	v_max_f32_e32 v197, v188, v194                             // 00000000A60C: 178B85BC
	v_mul_f32_e64 v168, -s46, v197                             // 00000000A610: D10500A8 20038A2E
	v_mov_b32_e32 v169, v168                                   // 00000000A618: 7F5203A8
	v_pk_fma_f32 v[4:5], v[4:5], s[46:47], v[168:169]          // 00000000A61C: D3B04004 1EA05D04
	v_pk_fma_f32 v[6:7], v[6:7], s[46:47], v[168:169]          // 00000000A624: D3B04006 1EA05D06
	v_exp_f32_e32 v4, v4                                       // 00000000A62C: 7E084104
	v_exp_f32_e32 v5, v5                                       // 00000000A630: 7E0A4105
	v_exp_f32_e32 v6, v6                                       // 00000000A634: 7E0C4106
	v_exp_f32_e32 v7, v7                                       // 00000000A638: 7E0E4107
	v_pk_fma_f32 v[8:9], v[8:9], s[46:47], v[168:169]          // 00000000A63C: D3B04008 1EA05D08
	v_pk_fma_f32 v[10:11], v[10:11], s[46:47], v[168:169]      // 00000000A644: D3B0400A 1EA05D0A
	v_exp_f32_e32 v8, v8                                       // 00000000A64C: 7E104108
	v_exp_f32_e32 v9, v9                                       // 00000000A650: 7E124109
	v_exp_f32_e32 v10, v10                                     // 00000000A654: 7E14410A
	v_exp_f32_e32 v11, v11                                     // 00000000A658: 7E16410B
	v_pk_fma_f32 v[12:13], v[12:13], s[46:47], v[168:169]      // 00000000A65C: D3B0400C 1EA05D0C
	v_pk_fma_f32 v[14:15], v[14:15], s[46:47], v[168:169]      // 00000000A664: D3B0400E 1EA05D0E
	v_exp_f32_e32 v12, v12                                     // 00000000A66C: 7E18410C
	v_exp_f32_e32 v13, v13                                     // 00000000A670: 7E1A410D
	v_exp_f32_e32 v14, v14                                     // 00000000A674: 7E1C410E
	v_exp_f32_e32 v15, v15                                     // 00000000A678: 7E1E410F
	v_pk_fma_f32 v[16:17], v[16:17], s[46:47], v[168:169]      // 00000000A67C: D3B04010 1EA05D10
	v_pk_fma_f32 v[18:19], v[18:19], s[46:47], v[168:169]      // 00000000A684: D3B04012 1EA05D12
	v_exp_f32_e32 v16, v16                                     // 00000000A68C: 7E204110
	v_exp_f32_e32 v17, v17                                     // 00000000A690: 7E224111
	v_exp_f32_e32 v18, v18                                     // 00000000A694: 7E244112
	v_exp_f32_e32 v19, v19                                     // 00000000A698: 7E264113
	v_max_f32_e32 v198, v189, v195                             // 00000000A69C: 178D87BD
	v_mul_f32_e64 v168, -s46, v198                             // 00000000A6A0: D10500A8 20038C2E
	v_mov_b32_e32 v169, v168                                   // 00000000A6A8: 7F5203A8
	v_pk_fma_f32 v[20:21], v[20:21], s[46:47], v[168:169]      // 00000000A6AC: D3B04014 1EA05D14
	v_pk_fma_f32 v[22:23], v[22:23], s[46:47], v[168:169]      // 00000000A6B4: D3B04016 1EA05D16
	v_exp_f32_e32 v20, v20                                     // 00000000A6BC: 7E284114
	v_exp_f32_e32 v21, v21                                     // 00000000A6C0: 7E2A4115
	v_exp_f32_e32 v22, v22                                     // 00000000A6C4: 7E2C4116
	v_exp_f32_e32 v23, v23                                     // 00000000A6C8: 7E2E4117
	v_pk_fma_f32 v[24:25], v[24:25], s[46:47], v[168:169]      // 00000000A6CC: D3B04018 1EA05D18
	v_pk_fma_f32 v[26:27], v[26:27], s[46:47], v[168:169]      // 00000000A6D4: D3B0401A 1EA05D1A
	v_exp_f32_e32 v24, v24                                     // 00000000A6DC: 7E304118
	v_exp_f32_e32 v25, v25                                     // 00000000A6E0: 7E324119
	v_exp_f32_e32 v26, v26                                     // 00000000A6E4: 7E34411A
	v_exp_f32_e32 v27, v27                                     // 00000000A6E8: 7E36411B
	v_pk_fma_f32 v[28:29], v[28:29], s[46:47], v[168:169]      // 00000000A6EC: D3B0401C 1EA05D1C
	v_pk_fma_f32 v[30:31], v[30:31], s[46:47], v[168:169]      // 00000000A6F4: D3B0401E 1EA05D1E
	v_exp_f32_e32 v28, v28                                     // 00000000A6FC: 7E38411C
	v_exp_f32_e32 v29, v29                                     // 00000000A700: 7E3A411D
	v_exp_f32_e32 v30, v30                                     // 00000000A704: 7E3C411E
	v_exp_f32_e32 v31, v31                                     // 00000000A708: 7E3E411F
	v_pk_fma_f32 v[32:33], v[32:33], s[46:47], v[168:169]      // 00000000A70C: D3B04020 1EA05D20
	v_pk_fma_f32 v[34:35], v[34:35], s[46:47], v[168:169]      // 00000000A714: D3B04022 1EA05D22
	v_exp_f32_e32 v32, v32                                     // 00000000A71C: 7E404120
	v_exp_f32_e32 v33, v33                                     // 00000000A720: 7E424121
	v_exp_f32_e32 v34, v34                                     // 00000000A724: 7E444122
	v_exp_f32_e32 v35, v35                                     // 00000000A728: 7E464123
	v_max_f32_e32 v199, v190, v196                             // 00000000A72C: 178F89BE
	v_mul_f32_e64 v168, -s46, v199                             // 00000000A730: D10500A8 20038E2E
	v_mov_b32_e32 v169, v168                                   // 00000000A738: 7F5203A8
	v_pk_fma_f32 v[36:37], v[36:37], s[46:47], v[168:169]      // 00000000A73C: D3B04024 1EA05D24
	v_pk_fma_f32 v[38:39], v[38:39], s[46:47], v[168:169]      // 00000000A744: D3B04026 1EA05D26
	v_exp_f32_e32 v36, v36                                     // 00000000A74C: 7E484124
	v_exp_f32_e32 v37, v37                                     // 00000000A750: 7E4A4125
	v_exp_f32_e32 v38, v38                                     // 00000000A754: 7E4C4126
	v_exp_f32_e32 v39, v39                                     // 00000000A758: 7E4E4127
	v_pk_fma_f32 v[40:41], v[40:41], s[46:47], v[168:169]      // 00000000A75C: D3B04028 1EA05D28
	v_pk_fma_f32 v[42:43], v[42:43], s[46:47], v[168:169]      // 00000000A764: D3B0402A 1EA05D2A
	v_exp_f32_e32 v40, v40                                     // 00000000A76C: 7E504128
	v_exp_f32_e32 v41, v41                                     // 00000000A770: 7E524129
	v_exp_f32_e32 v42, v42                                     // 00000000A774: 7E54412A
	v_exp_f32_e32 v43, v43                                     // 00000000A778: 7E56412B
	v_mul_f32_dpp v52, v156, v4 row_newbcast:0 row_mask:0xf bank_mask:0xf// 00000000A77C: 0A6808FA FF01509C
	v_mul_f32_dpp v53, v156, v5 row_newbcast:1 row_mask:0xf bank_mask:0xf// 00000000A784: 0A6A0AFA FF01519C
	v_mul_f32_dpp v54, v156, v6 row_newbcast:2 row_mask:0xf bank_mask:0xf// 00000000A78C: 0A6C0CFA FF01529C
	v_mul_f32_dpp v55, v156, v7 row_newbcast:3 row_mask:0xf bank_mask:0xf// 00000000A794: 0A6E0EFA FF01539C
	v_mul_f32_dpp v56, v156, v8 row_newbcast:4 row_mask:0xf bank_mask:0xf// 00000000A79C: 0A7010FA FF01549C
	v_mul_f32_dpp v57, v156, v9 row_newbcast:5 row_mask:0xf bank_mask:0xf// 00000000A7A4: 0A7212FA FF01559C
	v_mul_f32_dpp v58, v156, v10 row_newbcast:6 row_mask:0xf bank_mask:0xf// 00000000A7AC: 0A7414FA FF01569C
	v_mul_f32_dpp v59, v156, v11 row_newbcast:7 row_mask:0xf bank_mask:0xf// 00000000A7B4: 0A7616FA FF01579C
	v_mul_f32_dpp v60, v156, v12 row_newbcast:8 row_mask:0xf bank_mask:0xf// 00000000A7BC: 0A7818FA FF01589C
	v_mul_f32_dpp v61, v156, v13 row_newbcast:9 row_mask:0xf bank_mask:0xf// 00000000A7C4: 0A7A1AFA FF01599C
	v_mul_f32_dpp v62, v156, v14 row_newbcast:10 row_mask:0xf bank_mask:0xf// 00000000A7CC: 0A7C1CFA FF015A9C
	v_mul_f32_dpp v63, v156, v15 row_newbcast:11 row_mask:0xf bank_mask:0xf// 00000000A7D4: 0A7E1EFA FF015B9C
	v_mul_f32_dpp v64, v156, v16 row_newbcast:12 row_mask:0xf bank_mask:0xf// 00000000A7DC: 0A8020FA FF015C9C
	v_mul_f32_dpp v65, v156, v17 row_newbcast:13 row_mask:0xf bank_mask:0xf// 00000000A7E4: 0A8222FA FF015D9C
	v_mul_f32_dpp v66, v156, v18 row_newbcast:14 row_mask:0xf bank_mask:0xf// 00000000A7EC: 0A8424FA FF015E9C
	v_mul_f32_dpp v67, v156, v19 row_newbcast:15 row_mask:0xf bank_mask:0xf// 00000000A7F4: 0A8626FA FF015F9C
	v_mul_f32_dpp v68, v156, v20 row_newbcast:0 row_mask:0xf bank_mask:0xf// 00000000A7FC: 0A8828FA FF01509C
	v_mul_f32_dpp v69, v156, v21 row_newbcast:1 row_mask:0xf bank_mask:0xf// 00000000A804: 0A8A2AFA FF01519C
	v_mul_f32_dpp v70, v156, v22 row_newbcast:2 row_mask:0xf bank_mask:0xf// 00000000A80C: 0A8C2CFA FF01529C
	v_mul_f32_dpp v71, v156, v23 row_newbcast:3 row_mask:0xf bank_mask:0xf// 00000000A814: 0A8E2EFA FF01539C
	v_mul_f32_dpp v72, v156, v24 row_newbcast:4 row_mask:0xf bank_mask:0xf// 00000000A81C: 0A9030FA FF01549C
	v_mul_f32_dpp v73, v156, v25 row_newbcast:5 row_mask:0xf bank_mask:0xf// 00000000A824: 0A9232FA FF01559C
	v_mul_f32_dpp v74, v156, v26 row_newbcast:6 row_mask:0xf bank_mask:0xf// 00000000A82C: 0A9434FA FF01569C
	v_mul_f32_dpp v75, v156, v27 row_newbcast:7 row_mask:0xf bank_mask:0xf// 00000000A834: 0A9636FA FF01579C
	v_mul_f32_dpp v76, v156, v28 row_newbcast:8 row_mask:0xf bank_mask:0xf// 00000000A83C: 0A9838FA FF01589C
	v_mul_f32_dpp v77, v156, v29 row_newbcast:9 row_mask:0xf bank_mask:0xf// 00000000A844: 0A9A3AFA FF01599C
	v_mul_f32_dpp v78, v156, v30 row_newbcast:10 row_mask:0xf bank_mask:0xf// 00000000A84C: 0A9C3CFA FF015A9C
	v_mul_f32_dpp v79, v156, v31 row_newbcast:11 row_mask:0xf bank_mask:0xf// 00000000A854: 0A9E3EFA FF015B9C
	v_mul_f32_dpp v80, v156, v32 row_newbcast:12 row_mask:0xf bank_mask:0xf// 00000000A85C: 0AA040FA FF015C9C
	v_mul_f32_dpp v81, v156, v33 row_newbcast:13 row_mask:0xf bank_mask:0xf// 00000000A864: 0AA242FA FF015D9C
	v_mul_f32_dpp v82, v156, v34 row_newbcast:14 row_mask:0xf bank_mask:0xf// 00000000A86C: 0AA444FA FF015E9C
	v_mul_f32_dpp v83, v156, v35 row_newbcast:15 row_mask:0xf bank_mask:0xf// 00000000A874: 0AA646FA FF015F9C
	v_mul_f32_dpp v84, v166, v36 quad_perm:[0,0,0,0] row_mask:0xf bank_mask:0xf// 00000000A87C: 0AA848FA FF0000A6
	v_mul_f32_dpp v85, v166, v37 quad_perm:[1,1,1,1] row_mask:0xf bank_mask:0xf// 00000000A884: 0AAA4AFA FF0055A6
	v_mul_f32_dpp v86, v166, v38 quad_perm:[2,2,2,2] row_mask:0xf bank_mask:0xf// 00000000A88C: 0AAC4CFA FF00AAA6
	v_mul_f32_dpp v87, v166, v39 quad_perm:[3,3,3,3] row_mask:0xf bank_mask:0xf// 00000000A894: 0AAE4EFA FF00FFA6
	v_mul_f32_dpp v88, v167, v40 quad_perm:[0,0,0,0] row_mask:0xf bank_mask:0xf// 00000000A89C: 0AB050FA FF0000A7
	v_mul_f32_dpp v89, v167, v41 quad_perm:[1,1,1,1] row_mask:0xf bank_mask:0xf// 00000000A8A4: 0AB252FA FF0055A7
	v_mul_f32_dpp v90, v167, v42 quad_perm:[2,2,2,2] row_mask:0xf bank_mask:0xf// 00000000A8AC: 0AB454FA FF00AAA7
	v_mul_f32_dpp v91, v167, v43 quad_perm:[3,3,3,3] row_mask:0xf bank_mask:0xf// 00000000A8B4: 0AB656FA FF00FFA7
	v_mov_b32_e32 v190, 0x358637bd                             // 00000000A8BC: 7F7C02FF 358637BD
	v_max3_f32 v190, |v84|, |v85|, v190                        // 00000000A8C4: D1D303BE 06FAAB54
	v_max3_f32 v190, |v86|, |v87|, v190                        // 00000000A8CC: D1D303BE 06FAAF56
	v_max3_f32 v190, |v88|, |v89|, v190                        // 00000000A8D4: D1D303BE 06FAB358
	v_max3_f32 v190, |v90|, |v91|, v190                        // 00000000A8DC: D1D303BE 06FAB75A
	v_mov_b32_e32 v189, 0x358637bd                             // 00000000A8E4: 7F7A02FF 358637BD
	v_max3_f32 v189, |v68|, |v69|, v189                        // 00000000A8EC: D1D303BD 06F68B44
	v_max3_f32 v189, |v70|, |v71|, v189                        // 00000000A8F4: D1D303BD 06F68F46
	v_max3_f32 v189, |v72|, |v73|, v189                        // 00000000A8FC: D1D303BD 06F69348
	v_max3_f32 v189, |v74|, |v75|, v189                        // 00000000A904: D1D303BD 06F6974A
	v_max3_f32 v189, |v76|, |v77|, v189                        // 00000000A90C: D1D303BD 06F69B4C
	v_max3_f32 v189, |v78|, |v79|, v189                        // 00000000A914: D1D303BD 06F69F4E
	v_max3_f32 v189, |v80|, |v81|, v189                        // 00000000A91C: D1D303BD 06F6A350
	v_max3_f32 v189, |v82|, |v83|, v189                        // 00000000A924: D1D303BD 06F6A752
	v_mov_b32_e32 v188, 0x358637bd                             // 00000000A92C: 7F7802FF 358637BD
	v_max3_f32 v188, |v52|, |v53|, v188                        // 00000000A934: D1D303BC 06F26B34
	v_max3_f32 v188, |v54|, |v55|, v188                        // 00000000A93C: D1D303BC 06F26F36
	v_max3_f32 v188, |v56|, |v57|, v188                        // 00000000A944: D1D303BC 06F27338
	v_max3_f32 v188, |v58|, |v59|, v188                        // 00000000A94C: D1D303BC 06F2773A
	v_max3_f32 v188, |v60|, |v61|, v188                        // 00000000A954: D1D303BC 06F27B3C
	v_max3_f32 v188, |v62|, |v63|, v188                        // 00000000A95C: D1D303BC 06F27F3E
	v_max3_f32 v188, |v64|, |v65|, v188                        // 00000000A964: D1D303BC 06F28340
	v_max3_f32 v188, |v66|, |v67|, v188                        // 00000000A96C: D1D303BC 06F28742
	v_max_f32_dpp v190, v190, v190 row_ror:8 row_mask:0xf bank_mask:0xf// 00000000A974: 177D7CFA FF0128BE
	ds_bpermute_b32 v172, v212, v188                           // 00000000A97C: D87E0000 AC00BCD4
	ds_bpermute_b32 v173, v213, v188                           // 00000000A984: D87E0000 AD00BCD5
	ds_bpermute_b32 v174, v214, v188                           // 00000000A98C: D87E0000 AE00BCD6
	ds_bpermute_b32 v175, v212, v189                           // 00000000A994: D87E0000 AF00BDD4
	ds_bpermute_b32 v176, v213, v189                           // 00000000A99C: D87E0000 B000BDD5
	ds_bpermute_b32 v177, v214, v189                           // 00000000A9A4: D87E0000 B100BDD6
	ds_bpermute_b32 v178, v212, v190                           // 00000000A9AC: D87E0000 B200BED4
	ds_bpermute_b32 v179, v213, v190                           // 00000000A9B4: D87E0000 B300BED5
	ds_bpermute_b32 v180, v214, v190                           // 00000000A9BC: D87E0000 B400BED6
	s_waitcnt lgkmcnt(6)                                       // 00000000A9C4: BF8CC67F
	v_max3_f32 v188, v172, v173, v188                          // 00000000A9C8: D1D300BC 06F35BAC
	v_max_f32_e32 v188, v174, v188                             // 00000000A9D0: 177979AE
	s_waitcnt lgkmcnt(3)                                       // 00000000A9D4: BF8CC37F
	v_max3_f32 v189, v175, v176, v189                          // 00000000A9D8: D1D300BD 06F761AF
	v_max_f32_e32 v189, v177, v189                             // 00000000A9E0: 177B7BB1
	s_waitcnt lgkmcnt(0)                                       // 00000000A9E4: BF8CC07F
	v_max3_f32 v190, v178, v179, v190                          // 00000000A9E8: D1D300BE 06FB67B2
	v_max_f32_e32 v190, v180, v190                             // 00000000A9F0: 177D7DB4
	ds_write_b128 v252, v[188:191] offset:4096                 // 00000000A9F4: D9BE1000 0000BCFC
	buffer_load_dword v155, v238, s[20:23], 0 offen            // 00000000A9FC: E0501000 80059BEE
	v_sub_f32_e32 v200, v194, v197                             // 00000000AA04: 05918BC2
	v_cmp_eq_u32_e64 s[98:99], v225, v194                      // 00000000AA08: D0CA0062 000385E1
	v_cndmask_b32_e64 v200, v200, 0, s[98:99]                  // 00000000AA10: D10000C8 018901C8
	v_mov_b32_e32 v194, v197                                   // 00000000AA18: 7F8403C5
	v_mul_f32_e32 v200, s46, v200                              // 00000000AA1C: 0B91902E
	v_exp_f32_e32 v200, v200                                   // 00000000AA20: 7F9041C8
	v_sub_f32_e32 v202, v195, v198                             // 00000000AA24: 05958DC3
	v_cmp_eq_u32_e64 s[98:99], v225, v195                      // 00000000AA28: D0CA0062 000387E1
	v_cndmask_b32_e64 v202, v202, 0, s[98:99]                  // 00000000AA30: D10000CA 018901CA
	v_mov_b32_e32 v195, v198                                   // 00000000AA38: 7F8603C6
	v_mul_f32_e32 v202, s46, v202                              // 00000000AA3C: 0B95942E
	v_exp_f32_e32 v202, v202                                   // 00000000AA40: 7F9441CA
	v_sub_f32_e32 v204, v196, v199                             // 00000000AA44: 05998FC4
	v_cmp_eq_u32_e64 s[98:99], v225, v196                      // 00000000AA48: D0CA0062 000389E1
	v_cndmask_b32_e64 v204, v204, 0, s[98:99]                  // 00000000AA50: D10000CC 018901CC
	v_mov_b32_e32 v196, v199                                   // 00000000AA58: 7F8803C7
	v_mul_f32_e32 v204, s46, v204                              // 00000000AA5C: 0B99982E
	v_exp_f32_e32 v204, v204                                   // 00000000AA60: 7F9841CC
	v_mov_b32_e32 v201, v200                                   // 00000000AA64: 7F9203C8
	v_mov_b32_e32 v203, v202                                   // 00000000AA68: 7F9603CA
	v_mov_b32_e32 v205, v204                                   // 00000000AA6C: 7F9A03CC
	s_waitcnt lgkmcnt(0)                                       // 00000000AA70: BF8CC07F
	s_barrier                                                  // 00000000AA74: BF8A0000
	buffer_load_dword v157, v239, s[24:27], 0 offen            // 00000000AA78: E0501000 80069DEF
	v_mul_f32_e32 v206, v200, v206                             // 00000000AA80: 0B9D9DC8
	v_mov_b32_e32 v207, 0                                      // 00000000AA84: 7F9E0280
	v_pk_add_f32 v[206:207], v[4:5], v[206:207]                // 00000000AA88: D3B240CE 18039D04
	v_pk_add_f32 v[206:207], v[6:7], v[206:207]                // 00000000AA90: D3B240CE 18039D06
	v_pk_add_f32 v[206:207], v[8:9], v[206:207]                // 00000000AA98: D3B240CE 18039D08
	v_pk_add_f32 v[206:207], v[10:11], v[206:207]              // 00000000AAA0: D3B240CE 18039D0A
	v_pk_add_f32 v[206:207], v[12:13], v[206:207]              // 00000000AAA8: D3B240CE 18039D0C
	v_pk_add_f32 v[206:207], v[14:15], v[206:207]              // 00000000AAB0: D3B240CE 18039D0E
	v_pk_add_f32 v[206:207], v[16:17], v[206:207]              // 00000000AAB8: D3B240CE 18039D10
	v_pk_add_f32 v[206:207], v[18:19], v[206:207]              // 00000000AAC0: D3B240CE 18039D12
	v_add_f32_e32 v206, v207, v206                             // 00000000AAC8: 039D9DCF
	v_mul_f32_e32 v208, v202, v208                             // 00000000AACC: 0BA1A1CA
	v_mov_b32_e32 v209, 0                                      // 00000000AAD0: 7FA20280
	v_pk_add_f32 v[208:209], v[20:21], v[208:209]              // 00000000AAD4: D3B240D0 1803A114
	v_pk_add_f32 v[208:209], v[22:23], v[208:209]              // 00000000AADC: D3B240D0 1803A116
	v_pk_add_f32 v[208:209], v[24:25], v[208:209]              // 00000000AAE4: D3B240D0 1803A118
	v_pk_add_f32 v[208:209], v[26:27], v[208:209]              // 00000000AAEC: D3B240D0 1803A11A
	v_pk_add_f32 v[208:209], v[28:29], v[208:209]              // 00000000AAF4: D3B240D0 1803A11C
	v_pk_add_f32 v[208:209], v[30:31], v[208:209]              // 00000000AAFC: D3B240D0 1803A11E
	v_pk_add_f32 v[208:209], v[32:33], v[208:209]              // 00000000AB04: D3B240D0 1803A120
	v_pk_add_f32 v[208:209], v[34:35], v[208:209]              // 00000000AB0C: D3B240D0 1803A122
	v_add_f32_e32 v208, v209, v208                             // 00000000AB14: 03A1A1D1
	v_mul_f32_e32 v210, v204, v210                             // 00000000AB18: 0BA5A5CC
	v_mov_b32_e32 v211, 0                                      // 00000000AB1C: 7FA60280
	v_pk_add_f32 v[210:211], v[36:37], v[210:211]              // 00000000AB20: D3B240D2 1803A524
	v_pk_add_f32 v[210:211], v[38:39], v[210:211]              // 00000000AB28: D3B240D2 1803A526
	v_pk_add_f32 v[210:211], v[40:41], v[210:211]              // 00000000AB30: D3B240D2 1803A528
	v_pk_add_f32 v[210:211], v[42:43], v[210:211]              // 00000000AB38: D3B240D2 1803A52A
	v_add_f32_e32 v210, v211, v210                             // 00000000AB40: 03A5A5D3
	ds_read_b128 v[172:175], v253 offset:4096                  // 00000000AB44: D9FE1000 AC0000FD
	ds_read_b128 v[176:179], v253 offset:4352                  // 00000000AB4C: D9FE1100 B00000FD
	ds_read_b128 v[180:183], v253 offset:4608                  // 00000000AB54: D9FE1200 B40000FD
	ds_read_b128 v[184:187], v253 offset:4864                  // 00000000AB5C: D9FE1300 B80000FD
	s_waitcnt lgkmcnt(0)                                       // 00000000AB64: BF8CC07F
	v_max3_f32 v188, v172, v176, v188                          // 00000000AB68: D1D300BC 06F361AC
	v_max3_f32 v189, v173, v177, v189                          // 00000000AB70: D1D300BD 06F763AD
	v_max3_f32 v190, v174, v178, v190                          // 00000000AB78: D1D300BE 06FB65AE
	v_max3_f32 v188, v180, v184, v188                          // 00000000AB80: D1D300BC 06F371B4
	v_max3_f32 v189, v181, v185, v189                          // 00000000AB88: D1D300BD 06F773B5
	v_max3_f32 v190, v182, v186, v190                          // 00000000AB90: D1D300BE 06FB75B6
	v_rcp_f32_e32 v188, v188                                   // 00000000AB98: 7F7845BC
	v_rcp_f32_e32 v189, v189                                   // 00000000AB9C: 7F7A45BD
	v_rcp_f32_e32 v190, v190                                   // 00000000ABA0: 7F7C45BE
	v_mul_f32_e32 v188, 0x43700000, v188                       // 00000000ABA4: 0B7978FF 43700000
	v_mul_f32_e32 v189, 0x43700000, v189                       // 00000000ABAC: 0B7B7AFF 43700000
	v_mul_f32_e32 v190, 0x43700000, v190                       // 00000000ABB4: 0B7D7CFF 43700000
	v_mov_b32_e32 v192, v190                                   // 00000000ABBC: 7F8003BE
	v_mov_b32_e32 v193, v190                                   // 00000000ABC0: 7F8203BE
	v_mov_b32_e32 v190, v189                                   // 00000000ABC4: 7F7C03BD
	v_mov_b32_e32 v191, v189                                   // 00000000ABC8: 7F7E03BD
	v_mov_b32_e32 v189, v188                                   // 00000000ABCC: 7F7A03BC
	v_pk_mul_f32 v[4:5], v[188:189], v[52:53]                  // 00000000ABD0: D3B14004 180269BC
	v_pk_mul_f32 v[6:7], v[188:189], v[54:55]                  // 00000000ABD8: D3B14006 18026DBC
	v_pk_mul_f32 v[8:9], v[188:189], v[56:57]                  // 00000000ABE0: D3B14008 180271BC
	v_pk_mul_f32 v[10:11], v[188:189], v[58:59]                // 00000000ABE8: D3B1400A 180275BC
	v_pk_mul_f32 v[12:13], v[188:189], v[60:61]                // 00000000ABF0: D3B1400C 180279BC
	v_pk_mul_f32 v[14:15], v[188:189], v[62:63]                // 00000000ABF8: D3B1400E 18027DBC
	v_pk_mul_f32 v[16:17], v[188:189], v[64:65]                // 00000000AC00: D3B14010 180281BC
	v_pk_mul_f32 v[18:19], v[188:189], v[66:67]                // 00000000AC08: D3B14012 180285BC
	v_pk_mul_f32 v[20:21], v[190:191], v[68:69]                // 00000000AC10: D3B14014 180289BE
	v_pk_mul_f32 v[22:23], v[190:191], v[70:71]                // 00000000AC18: D3B14016 18028DBE
	v_pk_mul_f32 v[24:25], v[190:191], v[72:73]                // 00000000AC20: D3B14018 180291BE
	v_pk_mul_f32 v[26:27], v[190:191], v[74:75]                // 00000000AC28: D3B1401A 180295BE
	v_pk_mul_f32 v[28:29], v[190:191], v[76:77]                // 00000000AC30: D3B1401C 180299BE
	v_pk_mul_f32 v[30:31], v[190:191], v[78:79]                // 00000000AC38: D3B1401E 18029DBE
	v_pk_mul_f32 v[32:33], v[190:191], v[80:81]                // 00000000AC40: D3B14020 1802A1BE
	v_pk_mul_f32 v[34:35], v[190:191], v[82:83]                // 00000000AC48: D3B14022 1802A5BE
	v_pk_mul_f32 v[36:37], v[192:193], v[84:85]                // 00000000AC50: D3B14024 1802A9C0
	v_pk_mul_f32 v[38:39], v[192:193], v[86:87]                // 00000000AC58: D3B14026 1802ADC0
	v_pk_mul_f32 v[40:41], v[192:193], v[88:89]                // 00000000AC60: D3B14028 1802B1C0
	v_pk_mul_f32 v[42:43], v[192:193], v[90:91]                // 00000000AC68: D3B1402A 1802B5C0
	v_cvt_pk_fp8_f32 v4, v4, v5                                // 00000000AC70: D2A20004 00020B04
	v_cvt_pk_fp8_f32 v4, v6, v7 op_sel:[0,0,1]                 // 00000000AC78: D2A24004 00020F06
	v_cvt_pk_fp8_f32 v5, v8, v9                                // 00000000AC80: D2A20005 00021308
	v_cvt_pk_fp8_f32 v5, v10, v11 op_sel:[0,0,1]               // 00000000AC88: D2A24005 0002170A
	v_cvt_pk_fp8_f32 v6, v12, v13                              // 00000000AC90: D2A20006 00021B0C
	v_cvt_pk_fp8_f32 v6, v14, v15 op_sel:[0,0,1]               // 00000000AC98: D2A24006 00021F0E
	v_cvt_pk_fp8_f32 v7, v16, v17                              // 00000000ACA0: D2A20007 00022310
	v_cvt_pk_fp8_f32 v7, v18, v19 op_sel:[0,0,1]               // 00000000ACA8: D2A24007 00022712
	v_cvt_pk_fp8_f32 v8, v20, v21                              // 00000000ACB0: D2A20008 00022B14
	v_cvt_pk_fp8_f32 v8, v22, v23 op_sel:[0,0,1]               // 00000000ACB8: D2A24008 00022F16
	v_cvt_pk_fp8_f32 v9, v24, v25                              // 00000000ACC0: D2A20009 00023318
	v_cvt_pk_fp8_f32 v9, v26, v27 op_sel:[0,0,1]               // 00000000ACC8: D2A24009 0002371A
	v_cvt_pk_fp8_f32 v10, v28, v29                             // 00000000ACD0: D2A2000A 00023B1C
	v_cvt_pk_fp8_f32 v10, v30, v31 op_sel:[0,0,1]              // 00000000ACD8: D2A2400A 00023F1E
	v_cvt_pk_fp8_f32 v11, v32, v33                             // 00000000ACE0: D2A2000B 00024320
	v_cvt_pk_fp8_f32 v11, v34, v35 op_sel:[0,0,1]              // 00000000ACE8: D2A2400B 00024722
	v_cvt_pk_fp8_f32 v12, v36, v37                             // 00000000ACF0: D2A2000C 00024B24
	v_cvt_pk_fp8_f32 v12, v38, v39 op_sel:[0,0,1]              // 00000000ACF8: D2A2400C 00024F26
	v_cvt_pk_fp8_f32 v13, v40, v41                             // 00000000AD00: D2A2000D 00025328
	v_cvt_pk_fp8_f32 v13, v42, v43 op_sel:[0,0,1]              // 00000000AD08: D2A2400D 0002572A
	v_mov_b32_dpp v14, v12 row_shl:8 row_mask:0xf bank_mask:0xf bound_ctrl:1// 00000000AD10: 7E1C02FA FF09080C
	v_and_b32_e32 v12, v12, v224                               // 00000000AD18: 2619C10C
	v_mov_b32_dpp v15, v13 row_shl:8 row_mask:0xf bank_mask:0xf bound_ctrl:1// 00000000AD1C: 7E1E02FA FF09080D
	v_and_b32_e32 v13, v13, v224                               // 00000000AD24: 261BC10D
	ds_write_b32 v254, v4 offset:8192                          // 00000000AD28: D81A2000 000004FE
	ds_write_b32 v254, v5 offset:9216                          // 00000000AD30: D81A2400 000005FE
	ds_write_b32 v254, v6 offset:10240                         // 00000000AD38: D81A2800 000006FE
	ds_write_b32 v254, v7 offset:11264                         // 00000000AD40: D81A2C00 000007FE
	ds_write_b32 v254, v8 offset:12288                         // 00000000AD48: D81A3000 000008FE
	ds_write_b32 v254, v9 offset:13312                         // 00000000AD50: D81A3400 000009FE
	ds_write_b32 v254, v10 offset:14336                        // 00000000AD58: D81A3800 00000AFE
	ds_write_b32 v254, v11 offset:15360                        // 00000000AD60: D81A3C00 00000BFE
	ds_write_b32 v254, v12 offset:16384                        // 00000000AD68: D81A4000 00000CFE
	ds_write_b32 v254, v13 offset:17408                        // 00000000AD70: D81A4400 00000DFE
	ds_write_b32 v254, v14 offset:18432                        // 00000000AD78: D81A4800 00000EFE
	ds_write_b32 v254, v15 offset:19456                        // 00000000AD80: D81A4C00 00000FFE
	v_rcp_f32_e32 v158, v188                                   // 00000000AD88: 7F3C45BC
	v_rcp_f32_e32 v160, v190                                   // 00000000AD8C: 7F4045BE
	v_rcp_f32_e32 v162, v192                                   // 00000000AD90: 7F4445C0
	v_mov_b32_e32 v159, v158                                   // 00000000AD94: 7F3E039E
	v_mov_b32_e32 v161, v160                                   // 00000000AD98: 7F4203A0
	v_mov_b32_e32 v163, v162                                   // 00000000AD9C: 7F4603A2
	v_pk_add_f32 v[124:125], v[124:125], v[100:101]            // 00000000ADA0: D3B2407C 1802C97C
	v_pk_add_f32 v[126:127], v[126:127], v[102:103]            // 00000000ADA8: D3B2407E 1802CD7E
	v_pk_add_f32 v[128:129], v[128:129], v[104:105]            // 00000000ADB0: D3B24080 1802D180
	v_pk_add_f32 v[130:131], v[130:131], v[106:107]            // 00000000ADB8: D3B24082 1802D582
	v_pk_add_f32 v[132:133], v[132:133], v[108:109]            // 00000000ADC0: D3B24084 1802D984
	v_pk_add_f32 v[134:135], v[134:135], v[110:111]            // 00000000ADC8: D3B24086 1802DD86
	v_pk_add_f32 v[136:137], v[136:137], v[112:113]            // 00000000ADD0: D3B24088 1802E188
	v_pk_add_f32 v[138:139], v[138:139], v[114:115]            // 00000000ADD8: D3B2408A 1802E58A
	v_pk_add_f32 v[140:141], v[140:141], v[116:117]            // 00000000ADE0: D3B2408C 1802E98C
	v_pk_add_f32 v[142:143], v[142:143], v[118:119]            // 00000000ADE8: D3B2408E 1802ED8E
	v_pk_add_f32 v[144:145], v[144:145], v[120:121]            // 00000000ADF0: D3B24090 1802F190
	v_pk_add_f32 v[146:147], v[146:147], v[122:123]            // 00000000ADF8: D3B24092 1802F592
	s_waitcnt lgkmcnt(0)                                       // 00000000AE00: BF8CC07F
	s_barrier                                                  // 00000000AE04: BF8A0000
	ds_read_b128 v[4:7], v255 offset:8192                      // 00000000AE08: D9FE2000 040000FF
	ds_read_b128 v[8:11], v255 offset:9216                     // 00000000AE10: D9FE2400 080000FF
	ds_read_b128 v[12:15], v255 offset:10240                   // 00000000AE18: D9FE2800 0C0000FF
	ds_read_b128 v[16:19], v255 offset:11264                   // 00000000AE20: D9FE2C00 100000FF
	ds_read_b128 v[20:23], v255 offset:12288                   // 00000000AE28: D9FE3000 140000FF
	ds_read_b128 v[24:27], v255 offset:13312                   // 00000000AE30: D9FE3400 180000FF
	ds_read_b128 v[28:31], v255 offset:14336                   // 00000000AE38: D9FE3800 1C0000FF
	ds_read_b128 v[32:35], v255 offset:15360                   // 00000000AE40: D9FE3C00 200000FF
	ds_read_b128 v[36:39], v255 offset:16384                   // 00000000AE48: D9FE4000 240000FF
	ds_read_b128 v[40:43], v255 offset:17408                   // 00000000AE50: D9FE4400 280000FF
	ds_read_b128 v[44:47], v255 offset:18432                   // 00000000AE58: D9FE4800 2C0000FF
	ds_read_b128 v[48:51], v255 offset:19456                   // 00000000AE60: D9FE4C00 300000FF
	s_waitcnt vmcnt(10)                                        // 00000000AE68: BF8C0F7A
	s_waitcnt lgkmcnt(11)                                      // 00000000AE6C: BF8CCB7F
	v_mfma_f32_16x16x32_fp8_fp8 v[100:103], a[88:89], v[4:5], 0// 00000000AE70: D3F30064 0A020958
	v_mfma_f32_16x16x32_fp8_fp8 v[104:107], a[104:105], v[4:5], 0// 00000000AE78: D3F30068 0A020968
	v_mfma_f32_16x16x32_fp8_fp8 v[100:103], a[90:91], v[6:7], v[100:103]// 00000000AE80: D3F30064 0D920D5A
	buffer_load_dwordx4 a[120:123], v234, s[16:19], 0 offen    // 00000000AE88: E05C1000 808478EA
	v_mfma_f32_16x16x32_fp8_fp8 v[104:107], a[106:107], v[6:7], v[104:107]// 00000000AE90: D3F30068 0DA20D6A
	s_waitcnt lgkmcnt(10)                                      // 00000000AE98: BF8CCA7F
	v_mfma_f32_16x16x32_fp8_fp8 v[100:103], a[92:93], v[8:9], v[100:103]// 00000000AE9C: D3F30064 0D92115C
	v_mfma_f32_16x16x32_fp8_fp8 v[104:107], a[108:109], v[8:9], v[104:107]// 00000000AEA4: D3F30068 0DA2116C
	v_mfma_f32_16x16x32_fp8_fp8 v[100:103], a[94:95], v[10:11], v[100:103]// 00000000AEAC: D3F30064 0D92155E
	buffer_load_dwordx4 a[124:127], v235, s[16:19], 0 offen    // 00000000AEB4: E05C1000 80847CEB
	v_mfma_f32_16x16x32_fp8_fp8 v[104:107], a[110:111], v[10:11], v[104:107]// 00000000AEBC: D3F30068 0DA2156E
	s_waitcnt lgkmcnt(9)                                       // 00000000AEC4: BF8CC97F
	v_mfma_f32_16x16x32_fp8_fp8 v[100:103], a[96:97], v[12:13], v[100:103]// 00000000AEC8: D3F30064 0D921960
	v_mfma_f32_16x16x32_fp8_fp8 v[104:107], a[112:113], v[12:13], v[104:107]// 00000000AED0: D3F30068 0DA21970
	v_mfma_f32_16x16x32_fp8_fp8 v[100:103], a[98:99], v[14:15], v[100:103]// 00000000AED8: D3F30064 0D921D62
	buffer_load_dwordx4 a[128:131], v236, s[16:19], 0 offen    // 00000000AEE0: E05C1000 808480EC
	v_mfma_f32_16x16x32_fp8_fp8 v[104:107], a[114:115], v[14:15], v[104:107]// 00000000AEE8: D3F30068 0DA21D72
	s_waitcnt lgkmcnt(8)                                       // 00000000AEF0: BF8CC87F
	v_mfma_f32_16x16x32_fp8_fp8 v[100:103], a[100:101], v[16:17], v[100:103]// 00000000AEF4: D3F30064 0D922164
	v_mfma_f32_16x16x32_fp8_fp8 v[104:107], a[116:117], v[16:17], v[104:107]// 00000000AEFC: D3F30068 0DA22174
	v_mfma_f32_16x16x32_fp8_fp8 v[100:103], a[102:103], v[18:19], v[100:103]// 00000000AF04: D3F30064 0D922566
	buffer_load_dwordx4 a[132:135], v237, s[16:19], 0 offen    // 00000000AF0C: E05C1000 808484ED
	v_mfma_f32_16x16x32_fp8_fp8 v[104:107], a[118:119], v[18:19], v[104:107]// 00000000AF14: D3F30068 0DA22576
	s_waitcnt lgkmcnt(7)                                       // 00000000AF1C: BF8CC77F
	v_mfma_f32_16x16x32_fp8_fp8 v[108:111], a[88:89], v[20:21], 0// 00000000AF20: D3F3006C 0A022958
	v_mfma_f32_16x16x32_fp8_fp8 v[112:115], a[104:105], v[20:21], 0// 00000000AF28: D3F30070 0A022968
	v_mfma_f32_16x16x32_fp8_fp8 v[108:111], a[90:91], v[22:23], v[108:111]// 00000000AF30: D3F3006C 0DB22D5A
	buffer_load_dwordx4 a[136:139], v234, s[16:19], 0 offen offset:1024// 00000000AF38: E05C1400 808488EA
	v_mfma_f32_16x16x32_fp8_fp8 v[112:115], a[106:107], v[22:23], v[112:115]// 00000000AF40: D3F30070 0DC22D6A
	s_waitcnt lgkmcnt(6)                                       // 00000000AF48: BF8CC67F
	v_mfma_f32_16x16x32_fp8_fp8 v[108:111], a[92:93], v[24:25], v[108:111]// 00000000AF4C: D3F3006C 0DB2315C
	v_mfma_f32_16x16x32_fp8_fp8 v[112:115], a[108:109], v[24:25], v[112:115]// 00000000AF54: D3F30070 0DC2316C
	v_mfma_f32_16x16x32_fp8_fp8 v[108:111], a[94:95], v[26:27], v[108:111]// 00000000AF5C: D3F3006C 0DB2355E
	buffer_load_dwordx4 a[140:143], v235, s[16:19], 0 offen offset:1024// 00000000AF64: E05C1400 80848CEB
	v_mfma_f32_16x16x32_fp8_fp8 v[112:115], a[110:111], v[26:27], v[112:115]// 00000000AF6C: D3F30070 0DC2356E
	s_waitcnt lgkmcnt(5)                                       // 00000000AF74: BF8CC57F
	v_mfma_f32_16x16x32_fp8_fp8 v[108:111], a[96:97], v[28:29], v[108:111]// 00000000AF78: D3F3006C 0DB23960
	v_mfma_f32_16x16x32_fp8_fp8 v[112:115], a[112:113], v[28:29], v[112:115]// 00000000AF80: D3F30070 0DC23970
	v_mfma_f32_16x16x32_fp8_fp8 v[108:111], a[98:99], v[30:31], v[108:111]// 00000000AF88: D3F3006C 0DB23D62
	buffer_load_dwordx4 a[144:147], v236, s[16:19], 0 offen offset:1024// 00000000AF90: E05C1400 808490EC
	v_mfma_f32_16x16x32_fp8_fp8 v[112:115], a[114:115], v[30:31], v[112:115]// 00000000AF98: D3F30070 0DC23D72
	s_waitcnt lgkmcnt(4)                                       // 00000000AFA0: BF8CC47F
	v_mfma_f32_16x16x32_fp8_fp8 v[108:111], a[100:101], v[32:33], v[108:111]// 00000000AFA4: D3F3006C 0DB24164
	v_mfma_f32_16x16x32_fp8_fp8 v[112:115], a[116:117], v[32:33], v[112:115]// 00000000AFAC: D3F30070 0DC24174
	v_mfma_f32_16x16x32_fp8_fp8 v[108:111], a[102:103], v[34:35], v[108:111]// 00000000AFB4: D3F3006C 0DB24566
	buffer_load_dwordx4 a[148:151], v237, s[16:19], 0 offen offset:1024// 00000000AFBC: E05C1400 808494ED
	v_mfma_f32_16x16x32_fp8_fp8 v[112:115], a[118:119], v[34:35], v[112:115]// 00000000AFC4: D3F30070 0DC24576
	s_waitcnt lgkmcnt(3)                                       // 00000000AFCC: BF8CC37F
	v_mfma_f32_16x16x32_fp8_fp8 v[116:119], a[88:89], v[36:37], 0// 00000000AFD0: D3F30074 0A024958
	v_mfma_f32_16x16x32_fp8_fp8 v[120:123], a[104:105], v[36:37], 0// 00000000AFD8: D3F30078 0A024968
	v_mfma_f32_16x16x32_fp8_fp8 v[116:119], a[90:91], v[38:39], v[116:119]// 00000000AFE0: D3F30074 0DD24D5A
	v_mfma_f32_16x16x32_fp8_fp8 v[120:123], a[106:107], v[38:39], v[120:123]// 00000000AFE8: D3F30078 0DE24D6A
	s_waitcnt lgkmcnt(2)                                       // 00000000AFF0: BF8CC27F
	v_mfma_f32_16x16x32_fp8_fp8 v[116:119], a[92:93], v[40:41], v[116:119]// 00000000AFF4: D3F30074 0DD2515C
	v_mfma_f32_16x16x32_fp8_fp8 v[120:123], a[108:109], v[40:41], v[120:123]// 00000000AFFC: D3F30078 0DE2516C
	v_mfma_f32_16x16x32_fp8_fp8 v[116:119], a[94:95], v[42:43], v[116:119]// 00000000B004: D3F30074 0DD2555E
	v_mfma_f32_16x16x32_fp8_fp8 v[120:123], a[110:111], v[42:43], v[120:123]// 00000000B00C: D3F30078 0DE2556E
	s_waitcnt lgkmcnt(1)                                       // 00000000B014: BF8CC17F
	v_mfma_f32_16x16x32_fp8_fp8 v[116:119], a[96:97], v[44:45], v[116:119]// 00000000B018: D3F30074 0DD25960
	v_mfma_f32_16x16x32_fp8_fp8 v[120:123], a[112:113], v[44:45], v[120:123]// 00000000B020: D3F30078 0DE25970
	v_mfma_f32_16x16x32_fp8_fp8 v[116:119], a[98:99], v[46:47], v[116:119]// 00000000B028: D3F30074 0DD25D62
	v_mfma_f32_16x16x32_fp8_fp8 v[120:123], a[114:115], v[46:47], v[120:123]// 00000000B030: D3F30078 0DE25D72
	s_waitcnt lgkmcnt(0)                                       // 00000000B038: BF8CC07F
	v_mfma_f32_16x16x32_fp8_fp8 v[116:119], a[100:101], v[48:49], v[116:119]// 00000000B03C: D3F30074 0DD26164
	v_mfma_f32_16x16x32_fp8_fp8 v[120:123], a[116:117], v[48:49], v[120:123]// 00000000B044: D3F30078 0DE26174
	v_mfma_f32_16x16x32_fp8_fp8 v[116:119], a[102:103], v[50:51], v[116:119]// 00000000B04C: D3F30074 0DD26566
	v_mfma_f32_16x16x32_fp8_fp8 v[120:123], a[118:119], v[50:51], v[120:123]// 00000000B054: D3F30078 0DE26576
	s_addk_i32 s64, 0x100                                      // 00000000B05C: B7400100
	s_cmp_lt_i32 s64, s63                                      // 00000000B060: BF043F40
	s_cbranch_scc0 label_3CA1                                  // 00000000B064: BF841A87
	s_waitcnt vmcnt(10)                                        // 00000000B068: BF8C0F7A
	v_mfma_f32_16x16x32_fp8_fp8 v[4:7], a[56:57], a[0:1], 0    // 00000000B06C: D3F30004 1A020138
	s_add_u32 s12, s86, s69                                    // 00000000B074: 800C4556
	s_addc_u32 s13, s87, 0                                     // 00000000B078: 820D8057
	v_mfma_f32_16x16x32_fp8_fp8 v[4:7], a[58:59], a[2:3], v[4:7]// 00000000B07C: D3F30004 1C12053A
	s_add_u32 s16, s88, s70                                    // 00000000B084: 80104658
	s_addc_u32 s17, s89, 0                                     // 00000000B088: 82118059
	v_mfma_f32_16x16x32_fp8_fp8 v[4:7], a[60:61], a[4:5], v[4:7]// 00000000B08C: D3F30004 1C12093C
	buffer_load_dwordx4 a[24:27], v232, s[12:15], 0 offen      // 00000000B094: E05C1000 808318E8
	v_mfma_f32_16x16x32_fp8_fp8 v[4:7], a[62:63], a[6:7], v[4:7]// 00000000B09C: D3F30004 1C120D3E
	s_add_u32 s20, s90, s71                                    // 00000000B0A4: 8014475A
	s_addc_u32 s21, s91, 0                                     // 00000000B0A8: 8215805B
	v_mfma_f32_16x16x32_fp8_fp8 v[8:11], a[64:65], a[0:1], 0   // 00000000B0AC: D3F30008 1A020140
	s_add_u32 s24, s92, s71                                    // 00000000B0B4: 8018475C
	s_addc_u32 s25, s93, 0                                     // 00000000B0B8: 8219805D
	v_mfma_f32_16x16x32_fp8_fp8 v[8:11], a[66:67], a[2:3], v[8:11]// 00000000B0BC: D3F30008 1C220542
	s_add_u32 s69, s69, 0x1000                                 // 00000000B0C4: 8045FF45 00001000
	s_add_u32 s70, s70, 0x8000                                 // 00000000B0CC: 8046FF46 00008000
	v_mfma_f32_16x16x32_fp8_fp8 v[8:11], a[68:69], a[4:5], v[8:11]// 00000000B0D4: D3F30008 1C220944
	buffer_load_dwordx4 a[28:31], v233, s[12:15], 0 offen      // 00000000B0DC: E05C1000 80831CE9
	v_mfma_f32_16x16x32_fp8_fp8 v[8:11], a[70:71], a[6:7], v[8:11]// 00000000B0E4: D3F30008 1C220D46
	s_add_u32 s71, s71, 0x400                                  // 00000000B0EC: 8047FF47 00000400
	v_mfma_f32_16x16x32_fp8_fp8 v[12:15], a[72:73], a[0:1], 0  // 00000000B0F4: D3F3000C 1A020148
	v_mfma_f32_16x16x32_fp8_fp8 v[12:15], a[74:75], a[2:3], v[12:15]// 00000000B0FC: D3F3000C 1C32054A
	v_mfma_f32_16x16x32_fp8_fp8 v[12:15], a[76:77], a[4:5], v[12:15]// 00000000B104: D3F3000C 1C32094C
	buffer_load_dwordx4 a[32:35], v232, s[12:15], 0 offen offset:1024// 00000000B10C: E05C1400 808320E8
	v_mfma_f32_16x16x32_fp8_fp8 v[12:15], a[78:79], a[6:7], v[12:15]// 00000000B114: D3F3000C 1C320D4E
	v_mfma_f32_16x16x32_fp8_fp8 v[16:19], a[80:81], a[0:1], 0  // 00000000B11C: D3F30010 1A020150
	v_mfma_f32_16x16x32_fp8_fp8 v[16:19], a[82:83], a[2:3], v[16:19]// 00000000B124: D3F30010 1C420552
	v_mfma_f32_16x16x32_fp8_fp8 v[16:19], a[84:85], a[4:5], v[16:19]// 00000000B12C: D3F30010 1C420954
	buffer_load_dwordx4 a[36:39], v233, s[12:15], 0 offen offset:1024// 00000000B134: E05C1400 808324E9
	v_mfma_f32_16x16x32_fp8_fp8 v[16:19], a[86:87], a[6:7], v[16:19]// 00000000B13C: D3F30010 1C420D56
	v_mfma_f32_16x16x32_fp8_fp8 v[20:23], a[56:57], a[8:9], 0  // 00000000B144: D3F30014 1A021138
	v_mfma_f32_16x16x32_fp8_fp8 v[20:23], a[58:59], a[10:11], v[20:23]// 00000000B14C: D3F30014 1C52153A
	v_mfma_f32_16x16x32_fp8_fp8 v[20:23], a[60:61], a[12:13], v[20:23]// 00000000B154: D3F30014 1C52193C
	buffer_load_dwordx4 a[40:43], v232, s[12:15], 0 offen offset:2048// 00000000B15C: E05C1800 808328E8
	v_mfma_f32_16x16x32_fp8_fp8 v[20:23], a[62:63], a[14:15], v[20:23]// 00000000B164: D3F30014 1C521D3E
	v_mfma_f32_16x16x32_fp8_fp8 v[24:27], a[64:65], a[8:9], 0  // 00000000B16C: D3F30018 1A021140
	v_mfma_f32_16x16x32_fp8_fp8 v[24:27], a[66:67], a[10:11], v[24:27]// 00000000B174: D3F30018 1C621542
	v_mfma_f32_16x16x32_fp8_fp8 v[24:27], a[68:69], a[12:13], v[24:27]// 00000000B17C: D3F30018 1C621944
	buffer_load_dwordx4 a[44:47], v233, s[12:15], 0 offen offset:2048// 00000000B184: E05C1800 80832CE9
	v_mfma_f32_16x16x32_fp8_fp8 v[24:27], a[70:71], a[14:15], v[24:27]// 00000000B18C: D3F30018 1C621D46
	v_mfma_f32_16x16x32_fp8_fp8 v[28:31], a[72:73], a[8:9], 0  // 00000000B194: D3F3001C 1A021148
	v_mfma_f32_16x16x32_fp8_fp8 v[28:31], a[74:75], a[10:11], v[28:31]// 00000000B19C: D3F3001C 1C72154A
	v_mfma_f32_16x16x32_fp8_fp8 v[28:31], a[76:77], a[12:13], v[28:31]// 00000000B1A4: D3F3001C 1C72194C
	buffer_load_dwordx4 a[48:51], v232, s[12:15], 0 offen offset:3072// 00000000B1AC: E05C1C00 808330E8
	v_mfma_f32_16x16x32_fp8_fp8 v[28:31], a[78:79], a[14:15], v[28:31]// 00000000B1B4: D3F3001C 1C721D4E
	v_mfma_f32_16x16x32_fp8_fp8 v[32:35], a[80:81], a[8:9], 0  // 00000000B1BC: D3F30020 1A021150
	v_mfma_f32_16x16x32_fp8_fp8 v[32:35], a[82:83], a[10:11], v[32:35]// 00000000B1C4: D3F30020 1C821552
	v_mfma_f32_16x16x32_fp8_fp8 v[32:35], a[84:85], a[12:13], v[32:35]// 00000000B1CC: D3F30020 1C821954
	buffer_load_dwordx4 a[52:55], v233, s[12:15], 0 offen offset:3072// 00000000B1D4: E05C1C00 808334E9
	v_mfma_f32_16x16x32_fp8_fp8 v[32:35], a[86:87], a[14:15], v[32:35]// 00000000B1DC: D3F30020 1C821D56
	v_mfma_f32_16x16x32_fp8_fp8 v[36:39], a[56:57], a[16:17], 0// 00000000B1E4: D3F30024 1A022138
	v_mfma_f32_16x16x32_fp8_fp8 v[36:39], a[58:59], a[18:19], v[36:39]// 00000000B1EC: D3F30024 1C92253A
	v_mfma_f32_16x16x32_fp8_fp8 v[36:39], a[60:61], a[20:21], v[36:39]// 00000000B1F4: D3F30024 1C92293C
	v_mfma_f32_16x16x32_fp8_fp8 v[36:39], a[62:63], a[22:23], v[36:39]// 00000000B1FC: D3F30024 1C922D3E
	v_mfma_f32_16x16x32_fp8_fp8 v[40:43], a[64:65], a[16:17], 0// 00000000B204: D3F30028 1A022140
	v_mfma_f32_16x16x32_fp8_fp8 v[40:43], a[66:67], a[18:19], v[40:43]// 00000000B20C: D3F30028 1CA22542
	v_mfma_f32_16x16x32_fp8_fp8 v[40:43], a[68:69], a[20:21], v[40:43]// 00000000B214: D3F30028 1CA22944
	v_mfma_f32_16x16x32_fp8_fp8 v[40:43], a[70:71], a[22:23], v[40:43]// 00000000B21C: D3F30028 1CA22D46
	v_mfma_f32_16x16x32_fp8_fp8 v[44:47], a[72:73], a[16:17], 0// 00000000B224: D3F3002C 1A022148
	v_mfma_f32_16x16x32_fp8_fp8 v[44:47], a[74:75], a[18:19], v[44:47]// 00000000B22C: D3F3002C 1CB2254A
	v_mfma_f32_16x16x32_fp8_fp8 v[44:47], a[76:77], a[20:21], v[44:47]// 00000000B234: D3F3002C 1CB2294C
	v_mfma_f32_16x16x32_fp8_fp8 v[44:47], a[78:79], a[22:23], v[44:47]// 00000000B23C: D3F3002C 1CB22D4E
	v_mfma_f32_16x16x32_fp8_fp8 v[48:51], a[80:81], a[16:17], 0// 00000000B244: D3F30030 1A022150
	v_mfma_f32_16x16x32_fp8_fp8 v[48:51], a[82:83], a[18:19], v[48:51]// 00000000B24C: D3F30030 1CC22552
	v_mfma_f32_16x16x32_fp8_fp8 v[48:51], a[84:85], a[20:21], v[48:51]// 00000000B254: D3F30030 1CC22954
	v_mfma_f32_16x16x32_fp8_fp8 v[48:51], a[86:87], a[22:23], v[48:51]// 00000000B25C: D3F30030 1CC22D56
	s_waitcnt vmcnt(16)                                        // 00000000B264: BF8C4F70
	v_or_b32_dpp v36, v44, v36 row_shr:8 row_mask:0xf bank_mask:0xf bound_ctrl:1// 00000000B268: 284848FA FF09182C
	v_or_b32_dpp v37, v45, v37 row_shr:8 row_mask:0xf bank_mask:0xf bound_ctrl:1// 00000000B270: 284A4AFA FF09182D
	v_or_b32_dpp v38, v46, v38 row_shr:8 row_mask:0xf bank_mask:0xf bound_ctrl:1// 00000000B278: 284C4CFA FF09182E
	v_or_b32_dpp v39, v47, v39 row_shr:8 row_mask:0xf bank_mask:0xf bound_ctrl:1// 00000000B280: 284E4EFA FF09182F
	v_or_b32_dpp v40, v48, v40 row_shr:8 row_mask:0xf bank_mask:0xf bound_ctrl:1// 00000000B288: 285050FA FF091830
	v_or_b32_dpp v41, v49, v41 row_shr:8 row_mask:0xf bank_mask:0xf bound_ctrl:1// 00000000B290: 285252FA FF091831
	v_or_b32_dpp v42, v50, v42 row_shr:8 row_mask:0xf bank_mask:0xf bound_ctrl:1// 00000000B298: 285454FA FF091832
	v_or_b32_dpp v43, v51, v43 row_shr:8 row_mask:0xf bank_mask:0xf bound_ctrl:1// 00000000B2A0: 285656FA FF091833
	v_mov_b32_dpp v168, v155 row_shr:4 row_mask:0xf bank_mask:0xf// 00000000B2A8: 7F5002FA FF01149B
	v_mov_b32_dpp v169, v155 row_shl:4 row_mask:0xf bank_mask:0xf// 00000000B2B0: 7F5202FA FF01049B
	v_cndmask_b32_e64 v164, v155, v168, s[2:3]                 // 00000000B2B8: D10000A4 000B519B
	v_cndmask_b32_e64 v165, v169, v155, s[2:3]                 // 00000000B2C0: D10000A5 000B37A9
	v_mov_b32_dpp v168, v157 row_shr:4 row_mask:0xf bank_mask:0xf// 00000000B2C8: 7F5002FA FF01149D
	v_mov_b32_dpp v169, v157 row_shl:4 row_mask:0xf bank_mask:0xf// 00000000B2D0: 7F5202FA FF01049D
	v_cndmask_b32_e64 v166, v157, v168, s[2:3]                 // 00000000B2D8: D10000A6 000B519D
	v_cndmask_b32_e64 v167, v169, v157, s[2:3]                 // 00000000B2E0: D10000A7 000B3BA9
	v_pk_mul_f32 v[4:5], v[148:149], v[4:5]                    // 00000000B2E8: D3B14004 18020994
	v_pk_mul_f32 v[6:7], v[148:149], v[6:7]                    // 00000000B2F0: D3B14006 18020D94
	v_pk_mul_f32 v[8:9], v[148:149], v[8:9]                    // 00000000B2F8: D3B14008 18021194
	v_pk_mul_f32 v[10:11], v[148:149], v[10:11]                // 00000000B300: D3B1400A 18021594
	v_pk_mul_f32 v[12:13], v[148:149], v[12:13]                // 00000000B308: D3B1400C 18021994
	v_pk_mul_f32 v[14:15], v[148:149], v[14:15]                // 00000000B310: D3B1400E 18021D94
	v_pk_mul_f32 v[16:17], v[148:149], v[16:17]                // 00000000B318: D3B14010 18022194
	v_pk_mul_f32 v[18:19], v[148:149], v[18:19]                // 00000000B320: D3B14012 18022594
	v_mul_f32_dpp v4, v155, v4 row_newbcast:0 row_mask:0xf bank_mask:0xf// 00000000B328: 0A0808FA FF01509B
	v_mul_f32_dpp v5, v155, v5 row_newbcast:1 row_mask:0xf bank_mask:0xf// 00000000B330: 0A0A0AFA FF01519B
	v_mul_f32_dpp v6, v155, v6 row_newbcast:2 row_mask:0xf bank_mask:0xf// 00000000B338: 0A0C0CFA FF01529B
	v_mul_f32_dpp v7, v155, v7 row_newbcast:3 row_mask:0xf bank_mask:0xf// 00000000B340: 0A0E0EFA FF01539B
	v_mul_f32_dpp v8, v155, v8 row_newbcast:4 row_mask:0xf bank_mask:0xf// 00000000B348: 0A1010FA FF01549B
	v_mul_f32_dpp v9, v155, v9 row_newbcast:5 row_mask:0xf bank_mask:0xf// 00000000B350: 0A1212FA FF01559B
	v_mul_f32_dpp v10, v155, v10 row_newbcast:6 row_mask:0xf bank_mask:0xf// 00000000B358: 0A1414FA FF01569B
	v_mul_f32_dpp v11, v155, v11 row_newbcast:7 row_mask:0xf bank_mask:0xf// 00000000B360: 0A1616FA FF01579B
	v_mul_f32_dpp v12, v155, v12 row_newbcast:8 row_mask:0xf bank_mask:0xf// 00000000B368: 0A1818FA FF01589B
	v_mul_f32_dpp v13, v155, v13 row_newbcast:9 row_mask:0xf bank_mask:0xf// 00000000B370: 0A1A1AFA FF01599B
	v_mul_f32_dpp v14, v155, v14 row_newbcast:10 row_mask:0xf bank_mask:0xf// 00000000B378: 0A1C1CFA FF015A9B
	v_mul_f32_dpp v15, v155, v15 row_newbcast:11 row_mask:0xf bank_mask:0xf// 00000000B380: 0A1E1EFA FF015B9B
	v_mul_f32_dpp v16, v155, v16 row_newbcast:12 row_mask:0xf bank_mask:0xf// 00000000B388: 0A2020FA FF015C9B
	v_mul_f32_dpp v17, v155, v17 row_newbcast:13 row_mask:0xf bank_mask:0xf// 00000000B390: 0A2222FA FF015D9B
	v_mul_f32_dpp v18, v155, v18 row_newbcast:14 row_mask:0xf bank_mask:0xf// 00000000B398: 0A2424FA FF015E9B
	v_mul_f32_dpp v19, v155, v19 row_newbcast:15 row_mask:0xf bank_mask:0xf// 00000000B3A0: 0A2626FA FF015F9B
	v_pk_mul_f32 v[20:21], v[150:151], v[20:21]                // 00000000B3A8: D3B14014 18022996
	v_pk_mul_f32 v[22:23], v[150:151], v[22:23]                // 00000000B3B0: D3B14016 18022D96
	v_pk_mul_f32 v[24:25], v[150:151], v[24:25]                // 00000000B3B8: D3B14018 18023196
	v_pk_mul_f32 v[26:27], v[150:151], v[26:27]                // 00000000B3C0: D3B1401A 18023596
	v_pk_mul_f32 v[28:29], v[150:151], v[28:29]                // 00000000B3C8: D3B1401C 18023996
	v_pk_mul_f32 v[30:31], v[150:151], v[30:31]                // 00000000B3D0: D3B1401E 18023D96
	v_pk_mul_f32 v[32:33], v[150:151], v[32:33]                // 00000000B3D8: D3B14020 18024196
	v_pk_mul_f32 v[34:35], v[150:151], v[34:35]                // 00000000B3E0: D3B14022 18024596
	v_mul_f32_dpp v20, v155, v20 row_newbcast:0 row_mask:0xf bank_mask:0xf// 00000000B3E8: 0A2828FA FF01509B
	v_mul_f32_dpp v21, v155, v21 row_newbcast:1 row_mask:0xf bank_mask:0xf// 00000000B3F0: 0A2A2AFA FF01519B
	v_mul_f32_dpp v22, v155, v22 row_newbcast:2 row_mask:0xf bank_mask:0xf// 00000000B3F8: 0A2C2CFA FF01529B
	v_mul_f32_dpp v23, v155, v23 row_newbcast:3 row_mask:0xf bank_mask:0xf// 00000000B400: 0A2E2EFA FF01539B
	v_mul_f32_dpp v24, v155, v24 row_newbcast:4 row_mask:0xf bank_mask:0xf// 00000000B408: 0A3030FA FF01549B
	v_mul_f32_dpp v25, v155, v25 row_newbcast:5 row_mask:0xf bank_mask:0xf// 00000000B410: 0A3232FA FF01559B
	v_mul_f32_dpp v26, v155, v26 row_newbcast:6 row_mask:0xf bank_mask:0xf// 00000000B418: 0A3434FA FF01569B
	v_mul_f32_dpp v27, v155, v27 row_newbcast:7 row_mask:0xf bank_mask:0xf// 00000000B420: 0A3636FA FF01579B
	v_mul_f32_dpp v28, v155, v28 row_newbcast:8 row_mask:0xf bank_mask:0xf// 00000000B428: 0A3838FA FF01589B
	v_mul_f32_dpp v29, v155, v29 row_newbcast:9 row_mask:0xf bank_mask:0xf// 00000000B430: 0A3A3AFA FF01599B
	v_mul_f32_dpp v30, v155, v30 row_newbcast:10 row_mask:0xf bank_mask:0xf// 00000000B438: 0A3C3CFA FF015A9B
	v_mul_f32_dpp v31, v155, v31 row_newbcast:11 row_mask:0xf bank_mask:0xf// 00000000B440: 0A3E3EFA FF015B9B
	v_mul_f32_dpp v32, v155, v32 row_newbcast:12 row_mask:0xf bank_mask:0xf// 00000000B448: 0A4040FA FF015C9B
	v_mul_f32_dpp v33, v155, v33 row_newbcast:13 row_mask:0xf bank_mask:0xf// 00000000B450: 0A4242FA FF015D9B
	v_mul_f32_dpp v34, v155, v34 row_newbcast:14 row_mask:0xf bank_mask:0xf// 00000000B458: 0A4444FA FF015E9B
	v_mul_f32_dpp v35, v155, v35 row_newbcast:15 row_mask:0xf bank_mask:0xf// 00000000B460: 0A4646FA FF015F9B
	v_pk_mul_f32 v[36:37], v[152:153], v[36:37]                // 00000000B468: D3B14024 18024998
	v_pk_mul_f32 v[38:39], v[152:153], v[38:39]                // 00000000B470: D3B14026 18024D98
	v_pk_mul_f32 v[40:41], v[152:153], v[40:41]                // 00000000B478: D3B14028 18025198
	v_pk_mul_f32 v[42:43], v[152:153], v[42:43]                // 00000000B480: D3B1402A 18025598
	v_mul_f32_dpp v36, v164, v36 quad_perm:[0,0,0,0] row_mask:0xf bank_mask:0xf// 00000000B488: 0A4848FA FF0000A4
	v_mul_f32_dpp v37, v164, v37 quad_perm:[1,1,1,1] row_mask:0xf bank_mask:0xf// 00000000B490: 0A4A4AFA FF0055A4
	v_mul_f32_dpp v38, v164, v38 quad_perm:[2,2,2,2] row_mask:0xf bank_mask:0xf// 00000000B498: 0A4C4CFA FF00AAA4
	v_mul_f32_dpp v39, v164, v39 quad_perm:[3,3,3,3] row_mask:0xf bank_mask:0xf// 00000000B4A0: 0A4E4EFA FF00FFA4
	v_mul_f32_dpp v40, v165, v40 quad_perm:[0,0,0,0] row_mask:0xf bank_mask:0xf// 00000000B4A8: 0A5050FA FF0000A5
	v_mul_f32_dpp v41, v165, v41 quad_perm:[1,1,1,1] row_mask:0xf bank_mask:0xf// 00000000B4B0: 0A5252FA FF0055A5
	v_mul_f32_dpp v42, v165, v42 quad_perm:[2,2,2,2] row_mask:0xf bank_mask:0xf// 00000000B4B8: 0A5454FA FF00AAA5
	v_mul_f32_dpp v43, v165, v43 quad_perm:[3,3,3,3] row_mask:0xf bank_mask:0xf// 00000000B4C0: 0A5656FA FF00FFA5
	v_mov_b32_e32 v190, v36                                    // 00000000B4C8: 7F7C0324
	v_max3_f32 v190, v36, v37, v190                            // 00000000B4CC: D1D300BE 06FA4B24
	v_max3_f32 v190, v38, v39, v190                            // 00000000B4D4: D1D300BE 06FA4F26
	v_max3_f32 v190, v40, v41, v190                            // 00000000B4DC: D1D300BE 06FA5328
	v_max3_f32 v190, v42, v43, v190                            // 00000000B4E4: D1D300BE 06FA572A
	v_mov_b32_e32 v189, v20                                    // 00000000B4EC: 7F7A0314
	v_max3_f32 v189, v20, v21, v189                            // 00000000B4F0: D1D300BD 06F62B14
	v_max3_f32 v189, v22, v23, v189                            // 00000000B4F8: D1D300BD 06F62F16
	v_max3_f32 v189, v24, v25, v189                            // 00000000B500: D1D300BD 06F63318
	v_max3_f32 v189, v26, v27, v189                            // 00000000B508: D1D300BD 06F6371A
	v_max3_f32 v189, v28, v29, v189                            // 00000000B510: D1D300BD 06F63B1C
	v_max3_f32 v189, v30, v31, v189                            // 00000000B518: D1D300BD 06F63F1E
	v_max3_f32 v189, v32, v33, v189                            // 00000000B520: D1D300BD 06F64320
	v_max3_f32 v189, v34, v35, v189                            // 00000000B528: D1D300BD 06F64722
	v_mov_b32_e32 v188, v4                                     // 00000000B530: 7F780304
	v_max3_f32 v188, v4, v5, v188                              // 00000000B534: D1D300BC 06F20B04
	v_max3_f32 v188, v6, v7, v188                              // 00000000B53C: D1D300BC 06F20F06
	v_max3_f32 v188, v8, v9, v188                              // 00000000B544: D1D300BC 06F21308
	v_max3_f32 v188, v10, v11, v188                            // 00000000B54C: D1D300BC 06F2170A
	v_max3_f32 v188, v12, v13, v188                            // 00000000B554: D1D300BC 06F21B0C
	v_max3_f32 v188, v14, v15, v188                            // 00000000B55C: D1D300BC 06F21F0E
	v_max3_f32 v188, v16, v17, v188                            // 00000000B564: D1D300BC 06F22310
	v_max3_f32 v188, v18, v19, v188                            // 00000000B56C: D1D300BC 06F22712
	v_max_f32_dpp v190, v190, v190 row_ror:8 row_mask:0xf bank_mask:0xf// 00000000B574: 177D7CFA FF0128BE
	v_pk_mul_f32 v[124:125], v[200:201], v[124:125]            // 00000000B57C: D3B1407C 1802F9C8
	v_pk_mul_f32 v[126:127], v[200:201], v[126:127]            // 00000000B584: D3B1407E 1802FDC8
	v_pk_mul_f32 v[128:129], v[200:201], v[128:129]            // 00000000B58C: D3B14080 180301C8
	v_pk_mul_f32 v[130:131], v[200:201], v[130:131]            // 00000000B594: D3B14082 180305C8
	v_pk_mul_f32 v[132:133], v[202:203], v[132:133]            // 00000000B59C: D3B14084 180309CA
	v_pk_mul_f32 v[134:135], v[202:203], v[134:135]            // 00000000B5A4: D3B14086 18030DCA
	v_pk_mul_f32 v[136:137], v[202:203], v[136:137]            // 00000000B5AC: D3B14088 180311CA
	v_pk_mul_f32 v[138:139], v[202:203], v[138:139]            // 00000000B5B4: D3B1408A 180315CA
	v_pk_mul_f32 v[140:141], v[204:205], v[140:141]            // 00000000B5BC: D3B1408C 180319CC
	v_pk_mul_f32 v[142:143], v[204:205], v[142:143]            // 00000000B5C4: D3B1408E 18031DCC
	v_pk_mul_f32 v[144:145], v[204:205], v[144:145]            // 00000000B5CC: D3B14090 180321CC
	v_pk_mul_f32 v[146:147], v[204:205], v[146:147]            // 00000000B5D4: D3B14092 180325CC
	ds_bpermute_b32 v172, v212, v188                           // 00000000B5DC: D87E0000 AC00BCD4
	ds_bpermute_b32 v173, v213, v188                           // 00000000B5E4: D87E0000 AD00BCD5
	ds_bpermute_b32 v174, v214, v188                           // 00000000B5EC: D87E0000 AE00BCD6
	ds_bpermute_b32 v175, v212, v189                           // 00000000B5F4: D87E0000 AF00BDD4
	ds_bpermute_b32 v176, v213, v189                           // 00000000B5FC: D87E0000 B000BDD5
	ds_bpermute_b32 v177, v214, v189                           // 00000000B604: D87E0000 B100BDD6
	ds_bpermute_b32 v178, v212, v190                           // 00000000B60C: D87E0000 B200BED4
	ds_bpermute_b32 v179, v213, v190                           // 00000000B614: D87E0000 B300BED5
	ds_bpermute_b32 v180, v214, v190                           // 00000000B61C: D87E0000 B400BED6
	s_waitcnt lgkmcnt(6)                                       // 00000000B624: BF8CC67F
	v_max3_f32 v188, v172, v173, v188                          // 00000000B628: D1D300BC 06F35BAC
	v_max_f32_e32 v188, v174, v188                             // 00000000B630: 177979AE
	s_waitcnt lgkmcnt(3)                                       // 00000000B634: BF8CC37F
	v_max3_f32 v189, v175, v176, v189                          // 00000000B638: D1D300BD 06F761AF
	v_max_f32_e32 v189, v177, v189                             // 00000000B640: 177B7BB1
	s_waitcnt lgkmcnt(0)                                       // 00000000B644: BF8CC07F
	v_max3_f32 v190, v178, v179, v190                          // 00000000B648: D1D300BE 06FB67B2
	v_max_f32_e32 v190, v180, v190                             // 00000000B650: 177D7DB4
	ds_write_b128 v252, v[188:191]                             // 00000000B654: D9BE0000 0000BCFC
	s_waitcnt lgkmcnt(0)                                       // 00000000B65C: BF8CC07F
	s_barrier                                                  // 00000000B660: BF8A0000
	v_pk_mul_f32 v[100:101], v[158:159], v[100:101]            // 00000000B664: D3B14064 1802C99E
	v_pk_mul_f32 v[102:103], v[158:159], v[102:103]            // 00000000B66C: D3B14066 1802CD9E
	v_pk_mul_f32 v[104:105], v[158:159], v[104:105]            // 00000000B674: D3B14068 1802D19E
	v_pk_mul_f32 v[106:107], v[158:159], v[106:107]            // 00000000B67C: D3B1406A 1802D59E
	v_pk_mul_f32 v[108:109], v[160:161], v[108:109]            // 00000000B684: D3B1406C 1802D9A0
	v_pk_mul_f32 v[110:111], v[160:161], v[110:111]            // 00000000B68C: D3B1406E 1802DDA0
	v_pk_mul_f32 v[112:113], v[160:161], v[112:113]            // 00000000B694: D3B14070 1802E1A0
	v_pk_mul_f32 v[114:115], v[160:161], v[114:115]            // 00000000B69C: D3B14072 1802E5A0
	v_pk_mul_f32 v[116:117], v[162:163], v[116:117]            // 00000000B6A4: D3B14074 1802E9A2
	v_pk_mul_f32 v[118:119], v[162:163], v[118:119]            // 00000000B6AC: D3B14076 1802EDA2
	v_pk_mul_f32 v[120:121], v[162:163], v[120:121]            // 00000000B6B4: D3B14078 1802F1A2
	v_pk_mul_f32 v[122:123], v[162:163], v[122:123]            // 00000000B6BC: D3B1407A 1802F5A2
	ds_read_b128 v[172:175], v253                              // 00000000B6C4: D9FE0000 AC0000FD
	ds_read_b128 v[176:179], v253 offset:256                   // 00000000B6CC: D9FE0100 B00000FD
	ds_read_b128 v[180:183], v253 offset:512                   // 00000000B6D4: D9FE0200 B40000FD
	ds_read_b128 v[184:187], v253 offset:768                   // 00000000B6DC: D9FE0300 B80000FD
	s_waitcnt lgkmcnt(0)                                       // 00000000B6E4: BF8CC07F
	v_max3_f32 v188, v172, v176, v188                          // 00000000B6E8: D1D300BC 06F361AC
	v_max3_f32 v189, v173, v177, v189                          // 00000000B6F0: D1D300BD 06F763AD
	v_max3_f32 v190, v174, v178, v190                          // 00000000B6F8: D1D300BE 06FB65AE
	v_max3_f32 v188, v180, v184, v188                          // 00000000B700: D1D300BC 06F371B4
	v_max3_f32 v189, v181, v185, v189                          // 00000000B708: D1D300BD 06F773B5
	v_max3_f32 v190, v182, v186, v190                          // 00000000B710: D1D300BE 06FB75B6
	v_max_f32_e32 v197, v188, v194                             // 00000000B718: 178B85BC
	v_mul_f32_e64 v168, -s46, v197                             // 00000000B71C: D10500A8 20038A2E
	v_mov_b32_e32 v169, v168                                   // 00000000B724: 7F5203A8
	v_pk_fma_f32 v[4:5], v[4:5], s[46:47], v[168:169]          // 00000000B728: D3B04004 1EA05D04
	v_pk_fma_f32 v[6:7], v[6:7], s[46:47], v[168:169]          // 00000000B730: D3B04006 1EA05D06
	v_exp_f32_e32 v4, v4                                       // 00000000B738: 7E084104
	v_exp_f32_e32 v5, v5                                       // 00000000B73C: 7E0A4105
	v_exp_f32_e32 v6, v6                                       // 00000000B740: 7E0C4106
	v_exp_f32_e32 v7, v7                                       // 00000000B744: 7E0E4107
	v_pk_fma_f32 v[8:9], v[8:9], s[46:47], v[168:169]          // 00000000B748: D3B04008 1EA05D08
	v_pk_fma_f32 v[10:11], v[10:11], s[46:47], v[168:169]      // 00000000B750: D3B0400A 1EA05D0A
	v_exp_f32_e32 v8, v8                                       // 00000000B758: 7E104108
	v_exp_f32_e32 v9, v9                                       // 00000000B75C: 7E124109
	v_exp_f32_e32 v10, v10                                     // 00000000B760: 7E14410A
	v_exp_f32_e32 v11, v11                                     // 00000000B764: 7E16410B
	v_pk_fma_f32 v[12:13], v[12:13], s[46:47], v[168:169]      // 00000000B768: D3B0400C 1EA05D0C
	v_pk_fma_f32 v[14:15], v[14:15], s[46:47], v[168:169]      // 00000000B770: D3B0400E 1EA05D0E
	v_exp_f32_e32 v12, v12                                     // 00000000B778: 7E18410C
	v_exp_f32_e32 v13, v13                                     // 00000000B77C: 7E1A410D
	v_exp_f32_e32 v14, v14                                     // 00000000B780: 7E1C410E
	v_exp_f32_e32 v15, v15                                     // 00000000B784: 7E1E410F
	v_pk_fma_f32 v[16:17], v[16:17], s[46:47], v[168:169]      // 00000000B788: D3B04010 1EA05D10
	v_pk_fma_f32 v[18:19], v[18:19], s[46:47], v[168:169]      // 00000000B790: D3B04012 1EA05D12
	v_exp_f32_e32 v16, v16                                     // 00000000B798: 7E204110
	v_exp_f32_e32 v17, v17                                     // 00000000B79C: 7E224111
	v_exp_f32_e32 v18, v18                                     // 00000000B7A0: 7E244112
	v_exp_f32_e32 v19, v19                                     // 00000000B7A4: 7E264113
	v_max_f32_e32 v198, v189, v195                             // 00000000B7A8: 178D87BD
	v_mul_f32_e64 v168, -s46, v198                             // 00000000B7AC: D10500A8 20038C2E
	v_mov_b32_e32 v169, v168                                   // 00000000B7B4: 7F5203A8
	v_pk_fma_f32 v[20:21], v[20:21], s[46:47], v[168:169]      // 00000000B7B8: D3B04014 1EA05D14
	v_pk_fma_f32 v[22:23], v[22:23], s[46:47], v[168:169]      // 00000000B7C0: D3B04016 1EA05D16
	v_exp_f32_e32 v20, v20                                     // 00000000B7C8: 7E284114
	v_exp_f32_e32 v21, v21                                     // 00000000B7CC: 7E2A4115
	v_exp_f32_e32 v22, v22                                     // 00000000B7D0: 7E2C4116
	v_exp_f32_e32 v23, v23                                     // 00000000B7D4: 7E2E4117
	v_pk_fma_f32 v[24:25], v[24:25], s[46:47], v[168:169]      // 00000000B7D8: D3B04018 1EA05D18
	v_pk_fma_f32 v[26:27], v[26:27], s[46:47], v[168:169]      // 00000000B7E0: D3B0401A 1EA05D1A
	v_exp_f32_e32 v24, v24                                     // 00000000B7E8: 7E304118
	v_exp_f32_e32 v25, v25                                     // 00000000B7EC: 7E324119
	v_exp_f32_e32 v26, v26                                     // 00000000B7F0: 7E34411A
	v_exp_f32_e32 v27, v27                                     // 00000000B7F4: 7E36411B
	v_pk_fma_f32 v[28:29], v[28:29], s[46:47], v[168:169]      // 00000000B7F8: D3B0401C 1EA05D1C
	v_pk_fma_f32 v[30:31], v[30:31], s[46:47], v[168:169]      // 00000000B800: D3B0401E 1EA05D1E
	v_exp_f32_e32 v28, v28                                     // 00000000B808: 7E38411C
	v_exp_f32_e32 v29, v29                                     // 00000000B80C: 7E3A411D
	v_exp_f32_e32 v30, v30                                     // 00000000B810: 7E3C411E
	v_exp_f32_e32 v31, v31                                     // 00000000B814: 7E3E411F
	v_pk_fma_f32 v[32:33], v[32:33], s[46:47], v[168:169]      // 00000000B818: D3B04020 1EA05D20
	v_pk_fma_f32 v[34:35], v[34:35], s[46:47], v[168:169]      // 00000000B820: D3B04022 1EA05D22
	v_exp_f32_e32 v32, v32                                     // 00000000B828: 7E404120
	v_exp_f32_e32 v33, v33                                     // 00000000B82C: 7E424121
	v_exp_f32_e32 v34, v34                                     // 00000000B830: 7E444122
	v_exp_f32_e32 v35, v35                                     // 00000000B834: 7E464123
	v_max_f32_e32 v199, v190, v196                             // 00000000B838: 178F89BE
	v_mul_f32_e64 v168, -s46, v199                             // 00000000B83C: D10500A8 20038E2E
	v_mov_b32_e32 v169, v168                                   // 00000000B844: 7F5203A8
	v_pk_fma_f32 v[36:37], v[36:37], s[46:47], v[168:169]      // 00000000B848: D3B04024 1EA05D24
	v_pk_fma_f32 v[38:39], v[38:39], s[46:47], v[168:169]      // 00000000B850: D3B04026 1EA05D26
	v_exp_f32_e32 v36, v36                                     // 00000000B858: 7E484124
	v_exp_f32_e32 v37, v37                                     // 00000000B85C: 7E4A4125
	v_exp_f32_e32 v38, v38                                     // 00000000B860: 7E4C4126
	v_exp_f32_e32 v39, v39                                     // 00000000B864: 7E4E4127
	v_pk_fma_f32 v[40:41], v[40:41], s[46:47], v[168:169]      // 00000000B868: D3B04028 1EA05D28
	v_pk_fma_f32 v[42:43], v[42:43], s[46:47], v[168:169]      // 00000000B870: D3B0402A 1EA05D2A
	v_exp_f32_e32 v40, v40                                     // 00000000B878: 7E504128
	v_exp_f32_e32 v41, v41                                     // 00000000B87C: 7E524129
	v_exp_f32_e32 v42, v42                                     // 00000000B880: 7E54412A
	v_exp_f32_e32 v43, v43                                     // 00000000B884: 7E56412B
	v_mul_f32_dpp v52, v157, v4 row_newbcast:0 row_mask:0xf bank_mask:0xf// 00000000B888: 0A6808FA FF01509D
	v_mul_f32_dpp v53, v157, v5 row_newbcast:1 row_mask:0xf bank_mask:0xf// 00000000B890: 0A6A0AFA FF01519D
	v_mul_f32_dpp v54, v157, v6 row_newbcast:2 row_mask:0xf bank_mask:0xf// 00000000B898: 0A6C0CFA FF01529D
	v_mul_f32_dpp v55, v157, v7 row_newbcast:3 row_mask:0xf bank_mask:0xf// 00000000B8A0: 0A6E0EFA FF01539D
	v_mul_f32_dpp v56, v157, v8 row_newbcast:4 row_mask:0xf bank_mask:0xf// 00000000B8A8: 0A7010FA FF01549D
	v_mul_f32_dpp v57, v157, v9 row_newbcast:5 row_mask:0xf bank_mask:0xf// 00000000B8B0: 0A7212FA FF01559D
	v_mul_f32_dpp v58, v157, v10 row_newbcast:6 row_mask:0xf bank_mask:0xf// 00000000B8B8: 0A7414FA FF01569D
	v_mul_f32_dpp v59, v157, v11 row_newbcast:7 row_mask:0xf bank_mask:0xf// 00000000B8C0: 0A7616FA FF01579D
	v_mul_f32_dpp v60, v157, v12 row_newbcast:8 row_mask:0xf bank_mask:0xf// 00000000B8C8: 0A7818FA FF01589D
	v_mul_f32_dpp v61, v157, v13 row_newbcast:9 row_mask:0xf bank_mask:0xf// 00000000B8D0: 0A7A1AFA FF01599D
	v_mul_f32_dpp v62, v157, v14 row_newbcast:10 row_mask:0xf bank_mask:0xf// 00000000B8D8: 0A7C1CFA FF015A9D
	v_mul_f32_dpp v63, v157, v15 row_newbcast:11 row_mask:0xf bank_mask:0xf// 00000000B8E0: 0A7E1EFA FF015B9D
	v_mul_f32_dpp v64, v157, v16 row_newbcast:12 row_mask:0xf bank_mask:0xf// 00000000B8E8: 0A8020FA FF015C9D
	v_mul_f32_dpp v65, v157, v17 row_newbcast:13 row_mask:0xf bank_mask:0xf// 00000000B8F0: 0A8222FA FF015D9D
	v_mul_f32_dpp v66, v157, v18 row_newbcast:14 row_mask:0xf bank_mask:0xf// 00000000B8F8: 0A8424FA FF015E9D
	v_mul_f32_dpp v67, v157, v19 row_newbcast:15 row_mask:0xf bank_mask:0xf// 00000000B900: 0A8626FA FF015F9D
	v_mul_f32_dpp v68, v157, v20 row_newbcast:0 row_mask:0xf bank_mask:0xf// 00000000B908: 0A8828FA FF01509D
	v_mul_f32_dpp v69, v157, v21 row_newbcast:1 row_mask:0xf bank_mask:0xf// 00000000B910: 0A8A2AFA FF01519D
	v_mul_f32_dpp v70, v157, v22 row_newbcast:2 row_mask:0xf bank_mask:0xf// 00000000B918: 0A8C2CFA FF01529D
	v_mul_f32_dpp v71, v157, v23 row_newbcast:3 row_mask:0xf bank_mask:0xf// 00000000B920: 0A8E2EFA FF01539D
	v_mul_f32_dpp v72, v157, v24 row_newbcast:4 row_mask:0xf bank_mask:0xf// 00000000B928: 0A9030FA FF01549D
	v_mul_f32_dpp v73, v157, v25 row_newbcast:5 row_mask:0xf bank_mask:0xf// 00000000B930: 0A9232FA FF01559D
	v_mul_f32_dpp v74, v157, v26 row_newbcast:6 row_mask:0xf bank_mask:0xf// 00000000B938: 0A9434FA FF01569D
	v_mul_f32_dpp v75, v157, v27 row_newbcast:7 row_mask:0xf bank_mask:0xf// 00000000B940: 0A9636FA FF01579D
	v_mul_f32_dpp v76, v157, v28 row_newbcast:8 row_mask:0xf bank_mask:0xf// 00000000B948: 0A9838FA FF01589D
	v_mul_f32_dpp v77, v157, v29 row_newbcast:9 row_mask:0xf bank_mask:0xf// 00000000B950: 0A9A3AFA FF01599D
	v_mul_f32_dpp v78, v157, v30 row_newbcast:10 row_mask:0xf bank_mask:0xf// 00000000B958: 0A9C3CFA FF015A9D
	v_mul_f32_dpp v79, v157, v31 row_newbcast:11 row_mask:0xf bank_mask:0xf// 00000000B960: 0A9E3EFA FF015B9D
	v_mul_f32_dpp v80, v157, v32 row_newbcast:12 row_mask:0xf bank_mask:0xf// 00000000B968: 0AA040FA FF015C9D
	v_mul_f32_dpp v81, v157, v33 row_newbcast:13 row_mask:0xf bank_mask:0xf// 00000000B970: 0AA242FA FF015D9D
	v_mul_f32_dpp v82, v157, v34 row_newbcast:14 row_mask:0xf bank_mask:0xf// 00000000B978: 0AA444FA FF015E9D
	v_mul_f32_dpp v83, v157, v35 row_newbcast:15 row_mask:0xf bank_mask:0xf// 00000000B980: 0AA646FA FF015F9D
	v_mul_f32_dpp v84, v166, v36 quad_perm:[0,0,0,0] row_mask:0xf bank_mask:0xf// 00000000B988: 0AA848FA FF0000A6
	v_mul_f32_dpp v85, v166, v37 quad_perm:[1,1,1,1] row_mask:0xf bank_mask:0xf// 00000000B990: 0AAA4AFA FF0055A6
	v_mul_f32_dpp v86, v166, v38 quad_perm:[2,2,2,2] row_mask:0xf bank_mask:0xf// 00000000B998: 0AAC4CFA FF00AAA6
	v_mul_f32_dpp v87, v166, v39 quad_perm:[3,3,3,3] row_mask:0xf bank_mask:0xf// 00000000B9A0: 0AAE4EFA FF00FFA6
	v_mul_f32_dpp v88, v167, v40 quad_perm:[0,0,0,0] row_mask:0xf bank_mask:0xf// 00000000B9A8: 0AB050FA FF0000A7
	v_mul_f32_dpp v89, v167, v41 quad_perm:[1,1,1,1] row_mask:0xf bank_mask:0xf// 00000000B9B0: 0AB252FA FF0055A7
	v_mul_f32_dpp v90, v167, v42 quad_perm:[2,2,2,2] row_mask:0xf bank_mask:0xf// 00000000B9B8: 0AB454FA FF00AAA7
	v_mul_f32_dpp v91, v167, v43 quad_perm:[3,3,3,3] row_mask:0xf bank_mask:0xf// 00000000B9C0: 0AB656FA FF00FFA7
	v_mov_b32_e32 v190, 0x358637bd                             // 00000000B9C8: 7F7C02FF 358637BD
	v_max3_f32 v190, |v84|, |v85|, v190                        // 00000000B9D0: D1D303BE 06FAAB54
	v_max3_f32 v190, |v86|, |v87|, v190                        // 00000000B9D8: D1D303BE 06FAAF56
	v_max3_f32 v190, |v88|, |v89|, v190                        // 00000000B9E0: D1D303BE 06FAB358
	v_max3_f32 v190, |v90|, |v91|, v190                        // 00000000B9E8: D1D303BE 06FAB75A
	v_mov_b32_e32 v189, 0x358637bd                             // 00000000B9F0: 7F7A02FF 358637BD
	v_max3_f32 v189, |v68|, |v69|, v189                        // 00000000B9F8: D1D303BD 06F68B44
	v_max3_f32 v189, |v70|, |v71|, v189                        // 00000000BA00: D1D303BD 06F68F46
	v_max3_f32 v189, |v72|, |v73|, v189                        // 00000000BA08: D1D303BD 06F69348
	v_max3_f32 v189, |v74|, |v75|, v189                        // 00000000BA10: D1D303BD 06F6974A
	v_max3_f32 v189, |v76|, |v77|, v189                        // 00000000BA18: D1D303BD 06F69B4C
	v_max3_f32 v189, |v78|, |v79|, v189                        // 00000000BA20: D1D303BD 06F69F4E
	v_max3_f32 v189, |v80|, |v81|, v189                        // 00000000BA28: D1D303BD 06F6A350
	v_max3_f32 v189, |v82|, |v83|, v189                        // 00000000BA30: D1D303BD 06F6A752
	v_mov_b32_e32 v188, 0x358637bd                             // 00000000BA38: 7F7802FF 358637BD
	v_max3_f32 v188, |v52|, |v53|, v188                        // 00000000BA40: D1D303BC 06F26B34
	v_max3_f32 v188, |v54|, |v55|, v188                        // 00000000BA48: D1D303BC 06F26F36
	v_max3_f32 v188, |v56|, |v57|, v188                        // 00000000BA50: D1D303BC 06F27338
	v_max3_f32 v188, |v58|, |v59|, v188                        // 00000000BA58: D1D303BC 06F2773A
	v_max3_f32 v188, |v60|, |v61|, v188                        // 00000000BA60: D1D303BC 06F27B3C
	v_max3_f32 v188, |v62|, |v63|, v188                        // 00000000BA68: D1D303BC 06F27F3E
	v_max3_f32 v188, |v64|, |v65|, v188                        // 00000000BA70: D1D303BC 06F28340
	v_max3_f32 v188, |v66|, |v67|, v188                        // 00000000BA78: D1D303BC 06F28742
	v_max_f32_dpp v190, v190, v190 row_ror:8 row_mask:0xf bank_mask:0xf// 00000000BA80: 177D7CFA FF0128BE
	ds_bpermute_b32 v172, v212, v188                           // 00000000BA88: D87E0000 AC00BCD4
	ds_bpermute_b32 v173, v213, v188                           // 00000000BA90: D87E0000 AD00BCD5
	ds_bpermute_b32 v174, v214, v188                           // 00000000BA98: D87E0000 AE00BCD6
	ds_bpermute_b32 v175, v212, v189                           // 00000000BAA0: D87E0000 AF00BDD4
	ds_bpermute_b32 v176, v213, v189                           // 00000000BAA8: D87E0000 B000BDD5
	ds_bpermute_b32 v177, v214, v189                           // 00000000BAB0: D87E0000 B100BDD6
	ds_bpermute_b32 v178, v212, v190                           // 00000000BAB8: D87E0000 B200BED4
	ds_bpermute_b32 v179, v213, v190                           // 00000000BAC0: D87E0000 B300BED5
	ds_bpermute_b32 v180, v214, v190                           // 00000000BAC8: D87E0000 B400BED6
	s_waitcnt lgkmcnt(6)                                       // 00000000BAD0: BF8CC67F
	v_max3_f32 v188, v172, v173, v188                          // 00000000BAD4: D1D300BC 06F35BAC
	v_max_f32_e32 v188, v174, v188                             // 00000000BADC: 177979AE
	s_waitcnt lgkmcnt(3)                                       // 00000000BAE0: BF8CC37F
	v_max3_f32 v189, v175, v176, v189                          // 00000000BAE4: D1D300BD 06F761AF
	v_max_f32_e32 v189, v177, v189                             // 00000000BAEC: 177B7BB1
	s_waitcnt lgkmcnt(0)                                       // 00000000BAF0: BF8CC07F
	v_max3_f32 v190, v178, v179, v190                          // 00000000BAF4: D1D300BE 06FB67B2
	v_max_f32_e32 v190, v180, v190                             // 00000000BAFC: 177D7DB4
	ds_write_b128 v252, v[188:191] offset:4096                 // 00000000BB00: D9BE1000 0000BCFC
	buffer_load_dword v154, v238, s[20:23], 0 offen            // 00000000BB08: E0501000 80059AEE
	v_sub_f32_e32 v200, v194, v197                             // 00000000BB10: 05918BC2
	v_cmp_eq_u32_e64 s[98:99], v225, v194                      // 00000000BB14: D0CA0062 000385E1
	v_cndmask_b32_e64 v200, v200, 0, s[98:99]                  // 00000000BB1C: D10000C8 018901C8
	v_mov_b32_e32 v194, v197                                   // 00000000BB24: 7F8403C5
	v_mul_f32_e32 v200, s46, v200                              // 00000000BB28: 0B91902E
	v_exp_f32_e32 v200, v200                                   // 00000000BB2C: 7F9041C8
	v_sub_f32_e32 v202, v195, v198                             // 00000000BB30: 05958DC3
	v_cmp_eq_u32_e64 s[98:99], v225, v195                      // 00000000BB34: D0CA0062 000387E1
	v_cndmask_b32_e64 v202, v202, 0, s[98:99]                  // 00000000BB3C: D10000CA 018901CA
	v_mov_b32_e32 v195, v198                                   // 00000000BB44: 7F8603C6
	v_mul_f32_e32 v202, s46, v202                              // 00000000BB48: 0B95942E
	v_exp_f32_e32 v202, v202                                   // 00000000BB4C: 7F9441CA
	v_sub_f32_e32 v204, v196, v199                             // 00000000BB50: 05998FC4
	v_cmp_eq_u32_e64 s[98:99], v225, v196                      // 00000000BB54: D0CA0062 000389E1
	v_cndmask_b32_e64 v204, v204, 0, s[98:99]                  // 00000000BB5C: D10000CC 018901CC
	v_mov_b32_e32 v196, v199                                   // 00000000BB64: 7F8803C7
	v_mul_f32_e32 v204, s46, v204                              // 00000000BB68: 0B99982E
	v_exp_f32_e32 v204, v204                                   // 00000000BB6C: 7F9841CC
	v_mov_b32_e32 v201, v200                                   // 00000000BB70: 7F9203C8
	v_mov_b32_e32 v203, v202                                   // 00000000BB74: 7F9603CA
	v_mov_b32_e32 v205, v204                                   // 00000000BB78: 7F9A03CC
	s_waitcnt lgkmcnt(0)                                       // 00000000BB7C: BF8CC07F
	s_barrier                                                  // 00000000BB80: BF8A0000
	buffer_load_dword v156, v239, s[24:27], 0 offen            // 00000000BB84: E0501000 80069CEF
	v_mul_f32_e32 v206, v200, v206                             // 00000000BB8C: 0B9D9DC8
	v_mov_b32_e32 v207, 0                                      // 00000000BB90: 7F9E0280
	v_pk_add_f32 v[206:207], v[4:5], v[206:207]                // 00000000BB94: D3B240CE 18039D04
	v_pk_add_f32 v[206:207], v[6:7], v[206:207]                // 00000000BB9C: D3B240CE 18039D06
	v_pk_add_f32 v[206:207], v[8:9], v[206:207]                // 00000000BBA4: D3B240CE 18039D08
	v_pk_add_f32 v[206:207], v[10:11], v[206:207]              // 00000000BBAC: D3B240CE 18039D0A
	v_pk_add_f32 v[206:207], v[12:13], v[206:207]              // 00000000BBB4: D3B240CE 18039D0C
	v_pk_add_f32 v[206:207], v[14:15], v[206:207]              // 00000000BBBC: D3B240CE 18039D0E
	v_pk_add_f32 v[206:207], v[16:17], v[206:207]              // 00000000BBC4: D3B240CE 18039D10
	v_pk_add_f32 v[206:207], v[18:19], v[206:207]              // 00000000BBCC: D3B240CE 18039D12
	v_add_f32_e32 v206, v207, v206                             // 00000000BBD4: 039D9DCF
	v_mul_f32_e32 v208, v202, v208                             // 00000000BBD8: 0BA1A1CA
	v_mov_b32_e32 v209, 0                                      // 00000000BBDC: 7FA20280
	v_pk_add_f32 v[208:209], v[20:21], v[208:209]              // 00000000BBE0: D3B240D0 1803A114
	v_pk_add_f32 v[208:209], v[22:23], v[208:209]              // 00000000BBE8: D3B240D0 1803A116
	v_pk_add_f32 v[208:209], v[24:25], v[208:209]              // 00000000BBF0: D3B240D0 1803A118
	v_pk_add_f32 v[208:209], v[26:27], v[208:209]              // 00000000BBF8: D3B240D0 1803A11A
	v_pk_add_f32 v[208:209], v[28:29], v[208:209]              // 00000000BC00: D3B240D0 1803A11C
	v_pk_add_f32 v[208:209], v[30:31], v[208:209]              // 00000000BC08: D3B240D0 1803A11E
	v_pk_add_f32 v[208:209], v[32:33], v[208:209]              // 00000000BC10: D3B240D0 1803A120
	v_pk_add_f32 v[208:209], v[34:35], v[208:209]              // 00000000BC18: D3B240D0 1803A122
	v_add_f32_e32 v208, v209, v208                             // 00000000BC20: 03A1A1D1
	v_mul_f32_e32 v210, v204, v210                             // 00000000BC24: 0BA5A5CC
	v_mov_b32_e32 v211, 0                                      // 00000000BC28: 7FA60280
	v_pk_add_f32 v[210:211], v[36:37], v[210:211]              // 00000000BC2C: D3B240D2 1803A524
	v_pk_add_f32 v[210:211], v[38:39], v[210:211]              // 00000000BC34: D3B240D2 1803A526
	v_pk_add_f32 v[210:211], v[40:41], v[210:211]              // 00000000BC3C: D3B240D2 1803A528
	v_pk_add_f32 v[210:211], v[42:43], v[210:211]              // 00000000BC44: D3B240D2 1803A52A
	v_add_f32_e32 v210, v211, v210                             // 00000000BC4C: 03A5A5D3
	ds_read_b128 v[172:175], v253 offset:4096                  // 00000000BC50: D9FE1000 AC0000FD
	ds_read_b128 v[176:179], v253 offset:4352                  // 00000000BC58: D9FE1100 B00000FD
	ds_read_b128 v[180:183], v253 offset:4608                  // 00000000BC60: D9FE1200 B40000FD
	ds_read_b128 v[184:187], v253 offset:4864                  // 00000000BC68: D9FE1300 B80000FD
	s_waitcnt lgkmcnt(0)                                       // 00000000BC70: BF8CC07F
	v_max3_f32 v188, v172, v176, v188                          // 00000000BC74: D1D300BC 06F361AC
	v_max3_f32 v189, v173, v177, v189                          // 00000000BC7C: D1D300BD 06F763AD
	v_max3_f32 v190, v174, v178, v190                          // 00000000BC84: D1D300BE 06FB65AE
	v_max3_f32 v188, v180, v184, v188                          // 00000000BC8C: D1D300BC 06F371B4
	v_max3_f32 v189, v181, v185, v189                          // 00000000BC94: D1D300BD 06F773B5
	v_max3_f32 v190, v182, v186, v190                          // 00000000BC9C: D1D300BE 06FB75B6
	v_rcp_f32_e32 v188, v188                                   // 00000000BCA4: 7F7845BC
	v_rcp_f32_e32 v189, v189                                   // 00000000BCA8: 7F7A45BD
	v_rcp_f32_e32 v190, v190                                   // 00000000BCAC: 7F7C45BE
	v_mul_f32_e32 v188, 0x43700000, v188                       // 00000000BCB0: 0B7978FF 43700000
	v_mul_f32_e32 v189, 0x43700000, v189                       // 00000000BCB8: 0B7B7AFF 43700000
	v_mul_f32_e32 v190, 0x43700000, v190                       // 00000000BCC0: 0B7D7CFF 43700000
	v_mov_b32_e32 v192, v190                                   // 00000000BCC8: 7F8003BE
	v_mov_b32_e32 v193, v190                                   // 00000000BCCC: 7F8203BE
	v_mov_b32_e32 v190, v189                                   // 00000000BCD0: 7F7C03BD
	v_mov_b32_e32 v191, v189                                   // 00000000BCD4: 7F7E03BD
	v_mov_b32_e32 v189, v188                                   // 00000000BCD8: 7F7A03BC
	v_pk_mul_f32 v[4:5], v[188:189], v[52:53]                  // 00000000BCDC: D3B14004 180269BC
	v_pk_mul_f32 v[6:7], v[188:189], v[54:55]                  // 00000000BCE4: D3B14006 18026DBC
	v_pk_mul_f32 v[8:9], v[188:189], v[56:57]                  // 00000000BCEC: D3B14008 180271BC
	v_pk_mul_f32 v[10:11], v[188:189], v[58:59]                // 00000000BCF4: D3B1400A 180275BC
	v_pk_mul_f32 v[12:13], v[188:189], v[60:61]                // 00000000BCFC: D3B1400C 180279BC
	v_pk_mul_f32 v[14:15], v[188:189], v[62:63]                // 00000000BD04: D3B1400E 18027DBC
	v_pk_mul_f32 v[16:17], v[188:189], v[64:65]                // 00000000BD0C: D3B14010 180281BC
	v_pk_mul_f32 v[18:19], v[188:189], v[66:67]                // 00000000BD14: D3B14012 180285BC
	v_pk_mul_f32 v[20:21], v[190:191], v[68:69]                // 00000000BD1C: D3B14014 180289BE
	v_pk_mul_f32 v[22:23], v[190:191], v[70:71]                // 00000000BD24: D3B14016 18028DBE
	v_pk_mul_f32 v[24:25], v[190:191], v[72:73]                // 00000000BD2C: D3B14018 180291BE
	v_pk_mul_f32 v[26:27], v[190:191], v[74:75]                // 00000000BD34: D3B1401A 180295BE
	v_pk_mul_f32 v[28:29], v[190:191], v[76:77]                // 00000000BD3C: D3B1401C 180299BE
	v_pk_mul_f32 v[30:31], v[190:191], v[78:79]                // 00000000BD44: D3B1401E 18029DBE
	v_pk_mul_f32 v[32:33], v[190:191], v[80:81]                // 00000000BD4C: D3B14020 1802A1BE
	v_pk_mul_f32 v[34:35], v[190:191], v[82:83]                // 00000000BD54: D3B14022 1802A5BE
	v_pk_mul_f32 v[36:37], v[192:193], v[84:85]                // 00000000BD5C: D3B14024 1802A9C0
	v_pk_mul_f32 v[38:39], v[192:193], v[86:87]                // 00000000BD64: D3B14026 1802ADC0
	v_pk_mul_f32 v[40:41], v[192:193], v[88:89]                // 00000000BD6C: D3B14028 1802B1C0
	v_pk_mul_f32 v[42:43], v[192:193], v[90:91]                // 00000000BD74: D3B1402A 1802B5C0
	v_cvt_pk_fp8_f32 v4, v4, v5                                // 00000000BD7C: D2A20004 00020B04
	v_cvt_pk_fp8_f32 v4, v6, v7 op_sel:[0,0,1]                 // 00000000BD84: D2A24004 00020F06
	v_cvt_pk_fp8_f32 v5, v8, v9                                // 00000000BD8C: D2A20005 00021308
	v_cvt_pk_fp8_f32 v5, v10, v11 op_sel:[0,0,1]               // 00000000BD94: D2A24005 0002170A
	v_cvt_pk_fp8_f32 v6, v12, v13                              // 00000000BD9C: D2A20006 00021B0C
	v_cvt_pk_fp8_f32 v6, v14, v15 op_sel:[0,0,1]               // 00000000BDA4: D2A24006 00021F0E
	v_cvt_pk_fp8_f32 v7, v16, v17                              // 00000000BDAC: D2A20007 00022310
	v_cvt_pk_fp8_f32 v7, v18, v19 op_sel:[0,0,1]               // 00000000BDB4: D2A24007 00022712
	v_cvt_pk_fp8_f32 v8, v20, v21                              // 00000000BDBC: D2A20008 00022B14
	v_cvt_pk_fp8_f32 v8, v22, v23 op_sel:[0,0,1]               // 00000000BDC4: D2A24008 00022F16
	v_cvt_pk_fp8_f32 v9, v24, v25                              // 00000000BDCC: D2A20009 00023318
	v_cvt_pk_fp8_f32 v9, v26, v27 op_sel:[0,0,1]               // 00000000BDD4: D2A24009 0002371A
	v_cvt_pk_fp8_f32 v10, v28, v29                             // 00000000BDDC: D2A2000A 00023B1C
	v_cvt_pk_fp8_f32 v10, v30, v31 op_sel:[0,0,1]              // 00000000BDE4: D2A2400A 00023F1E
	v_cvt_pk_fp8_f32 v11, v32, v33                             // 00000000BDEC: D2A2000B 00024320
	v_cvt_pk_fp8_f32 v11, v34, v35 op_sel:[0,0,1]              // 00000000BDF4: D2A2400B 00024722
	v_cvt_pk_fp8_f32 v12, v36, v37                             // 00000000BDFC: D2A2000C 00024B24
	v_cvt_pk_fp8_f32 v12, v38, v39 op_sel:[0,0,1]              // 00000000BE04: D2A2400C 00024F26
	v_cvt_pk_fp8_f32 v13, v40, v41                             // 00000000BE0C: D2A2000D 00025328
	v_cvt_pk_fp8_f32 v13, v42, v43 op_sel:[0,0,1]              // 00000000BE14: D2A2400D 0002572A
	v_mov_b32_dpp v14, v12 row_shl:8 row_mask:0xf bank_mask:0xf bound_ctrl:1// 00000000BE1C: 7E1C02FA FF09080C
	v_and_b32_e32 v12, v12, v224                               // 00000000BE24: 2619C10C
	v_mov_b32_dpp v15, v13 row_shl:8 row_mask:0xf bank_mask:0xf bound_ctrl:1// 00000000BE28: 7E1E02FA FF09080D
	v_and_b32_e32 v13, v13, v224                               // 00000000BE30: 261BC10D
	ds_write_b32 v254, v4 offset:8192                          // 00000000BE34: D81A2000 000004FE
	ds_write_b32 v254, v5 offset:9216                          // 00000000BE3C: D81A2400 000005FE
	ds_write_b32 v254, v6 offset:10240                         // 00000000BE44: D81A2800 000006FE
	ds_write_b32 v254, v7 offset:11264                         // 00000000BE4C: D81A2C00 000007FE
	ds_write_b32 v254, v8 offset:12288                         // 00000000BE54: D81A3000 000008FE
	ds_write_b32 v254, v9 offset:13312                         // 00000000BE5C: D81A3400 000009FE
	ds_write_b32 v254, v10 offset:14336                        // 00000000BE64: D81A3800 00000AFE
	ds_write_b32 v254, v11 offset:15360                        // 00000000BE6C: D81A3C00 00000BFE
	ds_write_b32 v254, v12 offset:16384                        // 00000000BE74: D81A4000 00000CFE
	ds_write_b32 v254, v13 offset:17408                        // 00000000BE7C: D81A4400 00000DFE
	ds_write_b32 v254, v14 offset:18432                        // 00000000BE84: D81A4800 00000EFE
	ds_write_b32 v254, v15 offset:19456                        // 00000000BE8C: D81A4C00 00000FFE
	v_rcp_f32_e32 v158, v188                                   // 00000000BE94: 7F3C45BC
	v_rcp_f32_e32 v160, v190                                   // 00000000BE98: 7F4045BE
	v_rcp_f32_e32 v162, v192                                   // 00000000BE9C: 7F4445C0
	v_mov_b32_e32 v159, v158                                   // 00000000BEA0: 7F3E039E
	v_mov_b32_e32 v161, v160                                   // 00000000BEA4: 7F4203A0
	v_mov_b32_e32 v163, v162                                   // 00000000BEA8: 7F4603A2
	v_pk_add_f32 v[124:125], v[124:125], v[100:101]            // 00000000BEAC: D3B2407C 1802C97C
	v_pk_add_f32 v[126:127], v[126:127], v[102:103]            // 00000000BEB4: D3B2407E 1802CD7E
	v_pk_add_f32 v[128:129], v[128:129], v[104:105]            // 00000000BEBC: D3B24080 1802D180
	v_pk_add_f32 v[130:131], v[130:131], v[106:107]            // 00000000BEC4: D3B24082 1802D582
	v_pk_add_f32 v[132:133], v[132:133], v[108:109]            // 00000000BECC: D3B24084 1802D984
	v_pk_add_f32 v[134:135], v[134:135], v[110:111]            // 00000000BED4: D3B24086 1802DD86
	v_pk_add_f32 v[136:137], v[136:137], v[112:113]            // 00000000BEDC: D3B24088 1802E188
	v_pk_add_f32 v[138:139], v[138:139], v[114:115]            // 00000000BEE4: D3B2408A 1802E58A
	v_pk_add_f32 v[140:141], v[140:141], v[116:117]            // 00000000BEEC: D3B2408C 1802E98C
	v_pk_add_f32 v[142:143], v[142:143], v[118:119]            // 00000000BEF4: D3B2408E 1802ED8E
	v_pk_add_f32 v[144:145], v[144:145], v[120:121]            // 00000000BEFC: D3B24090 1802F190
	v_pk_add_f32 v[146:147], v[146:147], v[122:123]            // 00000000BF04: D3B24092 1802F592
	s_waitcnt lgkmcnt(0)                                       // 00000000BF0C: BF8CC07F
	s_barrier                                                  // 00000000BF10: BF8A0000
	ds_read_b128 v[4:7], v255 offset:8192                      // 00000000BF14: D9FE2000 040000FF
	ds_read_b128 v[8:11], v255 offset:9216                     // 00000000BF1C: D9FE2400 080000FF
	ds_read_b128 v[12:15], v255 offset:10240                   // 00000000BF24: D9FE2800 0C0000FF
	ds_read_b128 v[16:19], v255 offset:11264                   // 00000000BF2C: D9FE2C00 100000FF
	ds_read_b128 v[20:23], v255 offset:12288                   // 00000000BF34: D9FE3000 140000FF
	ds_read_b128 v[24:27], v255 offset:13312                   // 00000000BF3C: D9FE3400 180000FF
	ds_read_b128 v[28:31], v255 offset:14336                   // 00000000BF44: D9FE3800 1C0000FF
	ds_read_b128 v[32:35], v255 offset:15360                   // 00000000BF4C: D9FE3C00 200000FF
	ds_read_b128 v[36:39], v255 offset:16384                   // 00000000BF54: D9FE4000 240000FF
	ds_read_b128 v[40:43], v255 offset:17408                   // 00000000BF5C: D9FE4400 280000FF
	ds_read_b128 v[44:47], v255 offset:18432                   // 00000000BF64: D9FE4800 2C0000FF
	ds_read_b128 v[48:51], v255 offset:19456                   // 00000000BF6C: D9FE4C00 300000FF
	s_waitcnt vmcnt(10)                                        // 00000000BF74: BF8C0F7A
	s_waitcnt lgkmcnt(11)                                      // 00000000BF78: BF8CCB7F
	v_mfma_f32_16x16x32_fp8_fp8 v[100:103], a[120:121], v[4:5], 0// 00000000BF7C: D3F30064 0A020978
	v_mfma_f32_16x16x32_fp8_fp8 v[104:107], a[136:137], v[4:5], 0// 00000000BF84: D3F30068 0A020988
	v_mfma_f32_16x16x32_fp8_fp8 v[100:103], a[122:123], v[6:7], v[100:103]// 00000000BF8C: D3F30064 0D920D7A
	buffer_load_dwordx4 a[88:91], v234, s[16:19], 0 offen      // 00000000BF94: E05C1000 808458EA
	v_mfma_f32_16x16x32_fp8_fp8 v[104:107], a[138:139], v[6:7], v[104:107]// 00000000BF9C: D3F30068 0DA20D8A
	s_waitcnt lgkmcnt(10)                                      // 00000000BFA4: BF8CCA7F
	v_mfma_f32_16x16x32_fp8_fp8 v[100:103], a[124:125], v[8:9], v[100:103]// 00000000BFA8: D3F30064 0D92117C
	v_mfma_f32_16x16x32_fp8_fp8 v[104:107], a[140:141], v[8:9], v[104:107]// 00000000BFB0: D3F30068 0DA2118C
	v_mfma_f32_16x16x32_fp8_fp8 v[100:103], a[126:127], v[10:11], v[100:103]// 00000000BFB8: D3F30064 0D92157E
	buffer_load_dwordx4 a[92:95], v235, s[16:19], 0 offen      // 00000000BFC0: E05C1000 80845CEB
	v_mfma_f32_16x16x32_fp8_fp8 v[104:107], a[142:143], v[10:11], v[104:107]// 00000000BFC8: D3F30068 0DA2158E
	s_waitcnt lgkmcnt(9)                                       // 00000000BFD0: BF8CC97F
	v_mfma_f32_16x16x32_fp8_fp8 v[100:103], a[128:129], v[12:13], v[100:103]// 00000000BFD4: D3F30064 0D921980
	v_mfma_f32_16x16x32_fp8_fp8 v[104:107], a[144:145], v[12:13], v[104:107]// 00000000BFDC: D3F30068 0DA21990
	v_mfma_f32_16x16x32_fp8_fp8 v[100:103], a[130:131], v[14:15], v[100:103]// 00000000BFE4: D3F30064 0D921D82
	buffer_load_dwordx4 a[96:99], v236, s[16:19], 0 offen      // 00000000BFEC: E05C1000 808460EC
	v_mfma_f32_16x16x32_fp8_fp8 v[104:107], a[146:147], v[14:15], v[104:107]// 00000000BFF4: D3F30068 0DA21D92
	s_waitcnt lgkmcnt(8)                                       // 00000000BFFC: BF8CC87F
	v_mfma_f32_16x16x32_fp8_fp8 v[100:103], a[132:133], v[16:17], v[100:103]// 00000000C000: D3F30064 0D922184
	v_mfma_f32_16x16x32_fp8_fp8 v[104:107], a[148:149], v[16:17], v[104:107]// 00000000C008: D3F30068 0DA22194
	v_mfma_f32_16x16x32_fp8_fp8 v[100:103], a[134:135], v[18:19], v[100:103]// 00000000C010: D3F30064 0D922586
	buffer_load_dwordx4 a[100:103], v237, s[16:19], 0 offen    // 00000000C018: E05C1000 808464ED
	v_mfma_f32_16x16x32_fp8_fp8 v[104:107], a[150:151], v[18:19], v[104:107]// 00000000C020: D3F30068 0DA22596
	s_waitcnt lgkmcnt(7)                                       // 00000000C028: BF8CC77F
	v_mfma_f32_16x16x32_fp8_fp8 v[108:111], a[120:121], v[20:21], 0// 00000000C02C: D3F3006C 0A022978
	v_mfma_f32_16x16x32_fp8_fp8 v[112:115], a[136:137], v[20:21], 0// 00000000C034: D3F30070 0A022988
	v_mfma_f32_16x16x32_fp8_fp8 v[108:111], a[122:123], v[22:23], v[108:111]// 00000000C03C: D3F3006C 0DB22D7A
	buffer_load_dwordx4 a[104:107], v234, s[16:19], 0 offen offset:1024// 00000000C044: E05C1400 808468EA
	v_mfma_f32_16x16x32_fp8_fp8 v[112:115], a[138:139], v[22:23], v[112:115]// 00000000C04C: D3F30070 0DC22D8A
	s_waitcnt lgkmcnt(6)                                       // 00000000C054: BF8CC67F
	v_mfma_f32_16x16x32_fp8_fp8 v[108:111], a[124:125], v[24:25], v[108:111]// 00000000C058: D3F3006C 0DB2317C
	v_mfma_f32_16x16x32_fp8_fp8 v[112:115], a[140:141], v[24:25], v[112:115]// 00000000C060: D3F30070 0DC2318C
	v_mfma_f32_16x16x32_fp8_fp8 v[108:111], a[126:127], v[26:27], v[108:111]// 00000000C068: D3F3006C 0DB2357E
	buffer_load_dwordx4 a[108:111], v235, s[16:19], 0 offen offset:1024// 00000000C070: E05C1400 80846CEB
	v_mfma_f32_16x16x32_fp8_fp8 v[112:115], a[142:143], v[26:27], v[112:115]// 00000000C078: D3F30070 0DC2358E
	s_waitcnt lgkmcnt(5)                                       // 00000000C080: BF8CC57F
	v_mfma_f32_16x16x32_fp8_fp8 v[108:111], a[128:129], v[28:29], v[108:111]// 00000000C084: D3F3006C 0DB23980
	v_mfma_f32_16x16x32_fp8_fp8 v[112:115], a[144:145], v[28:29], v[112:115]// 00000000C08C: D3F30070 0DC23990
	v_mfma_f32_16x16x32_fp8_fp8 v[108:111], a[130:131], v[30:31], v[108:111]// 00000000C094: D3F3006C 0DB23D82
	buffer_load_dwordx4 a[112:115], v236, s[16:19], 0 offen offset:1024// 00000000C09C: E05C1400 808470EC
	v_mfma_f32_16x16x32_fp8_fp8 v[112:115], a[146:147], v[30:31], v[112:115]// 00000000C0A4: D3F30070 0DC23D92
	s_waitcnt lgkmcnt(4)                                       // 00000000C0AC: BF8CC47F
	v_mfma_f32_16x16x32_fp8_fp8 v[108:111], a[132:133], v[32:33], v[108:111]// 00000000C0B0: D3F3006C 0DB24184
	v_mfma_f32_16x16x32_fp8_fp8 v[112:115], a[148:149], v[32:33], v[112:115]// 00000000C0B8: D3F30070 0DC24194
	v_mfma_f32_16x16x32_fp8_fp8 v[108:111], a[134:135], v[34:35], v[108:111]// 00000000C0C0: D3F3006C 0DB24586
	buffer_load_dwordx4 a[116:119], v237, s[16:19], 0 offen offset:1024// 00000000C0C8: E05C1400 808474ED
	v_mfma_f32_16x16x32_fp8_fp8 v[112:115], a[150:151], v[34:35], v[112:115]// 00000000C0D0: D3F30070 0DC24596
	s_waitcnt lgkmcnt(3)                                       // 00000000C0D8: BF8CC37F
	v_mfma_f32_16x16x32_fp8_fp8 v[116:119], a[120:121], v[36:37], 0// 00000000C0DC: D3F30074 0A024978
	v_mfma_f32_16x16x32_fp8_fp8 v[120:123], a[136:137], v[36:37], 0// 00000000C0E4: D3F30078 0A024988
	v_mfma_f32_16x16x32_fp8_fp8 v[116:119], a[122:123], v[38:39], v[116:119]// 00000000C0EC: D3F30074 0DD24D7A
	v_mfma_f32_16x16x32_fp8_fp8 v[120:123], a[138:139], v[38:39], v[120:123]// 00000000C0F4: D3F30078 0DE24D8A
	s_waitcnt lgkmcnt(2)                                       // 00000000C0FC: BF8CC27F
	v_mfma_f32_16x16x32_fp8_fp8 v[116:119], a[124:125], v[40:41], v[116:119]// 00000000C100: D3F30074 0DD2517C
	v_mfma_f32_16x16x32_fp8_fp8 v[120:123], a[140:141], v[40:41], v[120:123]// 00000000C108: D3F30078 0DE2518C
	v_mfma_f32_16x16x32_fp8_fp8 v[116:119], a[126:127], v[42:43], v[116:119]// 00000000C110: D3F30074 0DD2557E
	v_mfma_f32_16x16x32_fp8_fp8 v[120:123], a[142:143], v[42:43], v[120:123]// 00000000C118: D3F30078 0DE2558E
	s_waitcnt lgkmcnt(1)                                       // 00000000C120: BF8CC17F
	v_mfma_f32_16x16x32_fp8_fp8 v[116:119], a[128:129], v[44:45], v[116:119]// 00000000C124: D3F30074 0DD25980
	v_mfma_f32_16x16x32_fp8_fp8 v[120:123], a[144:145], v[44:45], v[120:123]// 00000000C12C: D3F30078 0DE25990
	v_mfma_f32_16x16x32_fp8_fp8 v[116:119], a[130:131], v[46:47], v[116:119]// 00000000C134: D3F30074 0DD25D82
	v_mfma_f32_16x16x32_fp8_fp8 v[120:123], a[146:147], v[46:47], v[120:123]// 00000000C13C: D3F30078 0DE25D92
	s_waitcnt lgkmcnt(0)                                       // 00000000C144: BF8CC07F
	v_mfma_f32_16x16x32_fp8_fp8 v[116:119], a[132:133], v[48:49], v[116:119]// 00000000C148: D3F30074 0DD26184
	v_mfma_f32_16x16x32_fp8_fp8 v[120:123], a[148:149], v[48:49], v[120:123]// 00000000C150: D3F30078 0DE26194
	v_mfma_f32_16x16x32_fp8_fp8 v[116:119], a[134:135], v[50:51], v[116:119]// 00000000C158: D3F30074 0DD26586
	v_mfma_f32_16x16x32_fp8_fp8 v[120:123], a[150:151], v[50:51], v[120:123]// 00000000C160: D3F30078 0DE26596
	s_addk_i32 s64, 0x100                                      // 00000000C168: B7400100
	s_branch label_1548                                        // 00000000C16C: BF82EEEC

000000000000c170 <label_265C>:
	s_cmp_lt_i32 s64, s62                                      // 00000000C170: BF043E40
	s_cbranch_scc0 label_440C                                  // 00000000C174: BF841DAE
	s_waitcnt vmcnt(10)                                        // 00000000C178: BF8C0F7A
	v_mfma_f32_16x16x32_fp8_fp8 v[4:7], a[24:25], a[0:1], 0    // 00000000C17C: D3F30004 1A020118
	s_add_u32 s12, s86, s69                                    // 00000000C184: 800C4556
	s_addc_u32 s13, s87, 0                                     // 00000000C188: 820D8057
	v_mfma_f32_16x16x32_fp8_fp8 v[4:7], a[26:27], a[2:3], v[4:7]// 00000000C18C: D3F30004 1C12051A
	s_add_u32 s16, s88, s70                                    // 00000000C194: 80104658
	s_addc_u32 s17, s89, 0                                     // 00000000C198: 82118059
	v_mfma_f32_16x16x32_fp8_fp8 v[4:7], a[28:29], a[4:5], v[4:7]// 00000000C19C: D3F30004 1C12091C
	buffer_load_dwordx4 a[56:59], v232, s[12:15], 0 offen      // 00000000C1A4: E05C1000 808338E8
	v_mfma_f32_16x16x32_fp8_fp8 v[4:7], a[30:31], a[6:7], v[4:7]// 00000000C1AC: D3F30004 1C120D1E
	s_add_u32 s20, s90, s71                                    // 00000000C1B4: 8014475A
	s_addc_u32 s21, s91, 0                                     // 00000000C1B8: 8215805B
	v_mfma_f32_16x16x32_fp8_fp8 v[8:11], a[32:33], a[0:1], 0   // 00000000C1BC: D3F30008 1A020120
	s_add_u32 s24, s92, s71                                    // 00000000C1C4: 8018475C
	s_addc_u32 s25, s93, 0                                     // 00000000C1C8: 8219805D
	v_mfma_f32_16x16x32_fp8_fp8 v[8:11], a[34:35], a[2:3], v[8:11]// 00000000C1CC: D3F30008 1C220522
	s_add_u32 s69, s69, 0x1000                                 // 00000000C1D4: 8045FF45 00001000
	s_add_u32 s70, s70, 0x8000                                 // 00000000C1DC: 8046FF46 00008000
	v_mfma_f32_16x16x32_fp8_fp8 v[8:11], a[36:37], a[4:5], v[8:11]// 00000000C1E4: D3F30008 1C220924
	buffer_load_dwordx4 a[60:63], v233, s[12:15], 0 offen      // 00000000C1EC: E05C1000 80833CE9
	v_mfma_f32_16x16x32_fp8_fp8 v[8:11], a[38:39], a[6:7], v[8:11]// 00000000C1F4: D3F30008 1C220D26
	s_add_u32 s71, s71, 0x400                                  // 00000000C1FC: 8047FF47 00000400
	v_mfma_f32_16x16x32_fp8_fp8 v[12:15], a[40:41], a[0:1], 0  // 00000000C204: D3F3000C 1A020128
	v_mfma_f32_16x16x32_fp8_fp8 v[12:15], a[42:43], a[2:3], v[12:15]// 00000000C20C: D3F3000C 1C32052A
	v_mfma_f32_16x16x32_fp8_fp8 v[12:15], a[44:45], a[4:5], v[12:15]// 00000000C214: D3F3000C 1C32092C
	buffer_load_dwordx4 a[64:67], v232, s[12:15], 0 offen offset:1024// 00000000C21C: E05C1400 808340E8
	v_mfma_f32_16x16x32_fp8_fp8 v[12:15], a[46:47], a[6:7], v[12:15]// 00000000C224: D3F3000C 1C320D2E
	v_mfma_f32_16x16x32_fp8_fp8 v[16:19], a[48:49], a[0:1], 0  // 00000000C22C: D3F30010 1A020130
	v_mfma_f32_16x16x32_fp8_fp8 v[16:19], a[50:51], a[2:3], v[16:19]// 00000000C234: D3F30010 1C420532
	v_mfma_f32_16x16x32_fp8_fp8 v[16:19], a[52:53], a[4:5], v[16:19]// 00000000C23C: D3F30010 1C420934
	buffer_load_dwordx4 a[68:71], v233, s[12:15], 0 offen offset:1024// 00000000C244: E05C1400 808344E9
	v_mfma_f32_16x16x32_fp8_fp8 v[16:19], a[54:55], a[6:7], v[16:19]// 00000000C24C: D3F30010 1C420D36
	v_mfma_f32_16x16x32_fp8_fp8 v[20:23], a[24:25], a[8:9], 0  // 00000000C254: D3F30014 1A021118
	v_mfma_f32_16x16x32_fp8_fp8 v[20:23], a[26:27], a[10:11], v[20:23]// 00000000C25C: D3F30014 1C52151A
	v_mfma_f32_16x16x32_fp8_fp8 v[20:23], a[28:29], a[12:13], v[20:23]// 00000000C264: D3F30014 1C52191C
	buffer_load_dwordx4 a[72:75], v232, s[12:15], 0 offen offset:2048// 00000000C26C: E05C1800 808348E8
	v_mfma_f32_16x16x32_fp8_fp8 v[20:23], a[30:31], a[14:15], v[20:23]// 00000000C274: D3F30014 1C521D1E
	v_mfma_f32_16x16x32_fp8_fp8 v[24:27], a[32:33], a[8:9], 0  // 00000000C27C: D3F30018 1A021120
	v_mfma_f32_16x16x32_fp8_fp8 v[24:27], a[34:35], a[10:11], v[24:27]// 00000000C284: D3F30018 1C621522
	v_mfma_f32_16x16x32_fp8_fp8 v[24:27], a[36:37], a[12:13], v[24:27]// 00000000C28C: D3F30018 1C621924
	buffer_load_dwordx4 a[76:79], v233, s[12:15], 0 offen offset:2048// 00000000C294: E05C1800 80834CE9
	v_mfma_f32_16x16x32_fp8_fp8 v[24:27], a[38:39], a[14:15], v[24:27]// 00000000C29C: D3F30018 1C621D26
	v_mfma_f32_16x16x32_fp8_fp8 v[28:31], a[40:41], a[8:9], 0  // 00000000C2A4: D3F3001C 1A021128
	v_mfma_f32_16x16x32_fp8_fp8 v[28:31], a[42:43], a[10:11], v[28:31]// 00000000C2AC: D3F3001C 1C72152A
	v_mfma_f32_16x16x32_fp8_fp8 v[28:31], a[44:45], a[12:13], v[28:31]// 00000000C2B4: D3F3001C 1C72192C
	buffer_load_dwordx4 a[80:83], v232, s[12:15], 0 offen offset:3072// 00000000C2BC: E05C1C00 808350E8
	v_mfma_f32_16x16x32_fp8_fp8 v[28:31], a[46:47], a[14:15], v[28:31]// 00000000C2C4: D3F3001C 1C721D2E
	v_mfma_f32_16x16x32_fp8_fp8 v[32:35], a[48:49], a[8:9], 0  // 00000000C2CC: D3F30020 1A021130
	v_mfma_f32_16x16x32_fp8_fp8 v[32:35], a[50:51], a[10:11], v[32:35]// 00000000C2D4: D3F30020 1C821532
	v_mfma_f32_16x16x32_fp8_fp8 v[32:35], a[52:53], a[12:13], v[32:35]// 00000000C2DC: D3F30020 1C821934
	buffer_load_dwordx4 a[84:87], v233, s[12:15], 0 offen offset:3072// 00000000C2E4: E05C1C00 808354E9
	v_mfma_f32_16x16x32_fp8_fp8 v[32:35], a[54:55], a[14:15], v[32:35]// 00000000C2EC: D3F30020 1C821D36
	v_mfma_f32_16x16x32_fp8_fp8 v[36:39], a[24:25], a[16:17], 0// 00000000C2F4: D3F30024 1A022118
	v_mfma_f32_16x16x32_fp8_fp8 v[36:39], a[26:27], a[18:19], v[36:39]// 00000000C2FC: D3F30024 1C92251A
	v_mfma_f32_16x16x32_fp8_fp8 v[36:39], a[28:29], a[20:21], v[36:39]// 00000000C304: D3F30024 1C92291C
	v_mfma_f32_16x16x32_fp8_fp8 v[36:39], a[30:31], a[22:23], v[36:39]// 00000000C30C: D3F30024 1C922D1E
	v_mfma_f32_16x16x32_fp8_fp8 v[40:43], a[32:33], a[16:17], 0// 00000000C314: D3F30028 1A022120
	v_mfma_f32_16x16x32_fp8_fp8 v[40:43], a[34:35], a[18:19], v[40:43]// 00000000C31C: D3F30028 1CA22522
	v_mfma_f32_16x16x32_fp8_fp8 v[40:43], a[36:37], a[20:21], v[40:43]// 00000000C324: D3F30028 1CA22924
	v_mfma_f32_16x16x32_fp8_fp8 v[40:43], a[38:39], a[22:23], v[40:43]// 00000000C32C: D3F30028 1CA22D26
	v_mfma_f32_16x16x32_fp8_fp8 v[44:47], a[40:41], a[16:17], 0// 00000000C334: D3F3002C 1A022128
	v_mfma_f32_16x16x32_fp8_fp8 v[44:47], a[42:43], a[18:19], v[44:47]// 00000000C33C: D3F3002C 1CB2252A
	v_mfma_f32_16x16x32_fp8_fp8 v[44:47], a[44:45], a[20:21], v[44:47]// 00000000C344: D3F3002C 1CB2292C
	v_mfma_f32_16x16x32_fp8_fp8 v[44:47], a[46:47], a[22:23], v[44:47]// 00000000C34C: D3F3002C 1CB22D2E
	v_mfma_f32_16x16x32_fp8_fp8 v[48:51], a[48:49], a[16:17], 0// 00000000C354: D3F30030 1A022130
	v_mfma_f32_16x16x32_fp8_fp8 v[48:51], a[50:51], a[18:19], v[48:51]// 00000000C35C: D3F30030 1CC22532
	v_mfma_f32_16x16x32_fp8_fp8 v[48:51], a[52:53], a[20:21], v[48:51]// 00000000C364: D3F30030 1CC22934
	v_mfma_f32_16x16x32_fp8_fp8 v[48:51], a[54:55], a[22:23], v[48:51]// 00000000C36C: D3F30030 1CC22D36
	s_waitcnt vmcnt(16)                                        // 00000000C374: BF8C4F70
	v_or_b32_dpp v36, v44, v36 row_shr:8 row_mask:0xf bank_mask:0xf bound_ctrl:1// 00000000C378: 284848FA FF09182C
	v_or_b32_dpp v37, v45, v37 row_shr:8 row_mask:0xf bank_mask:0xf bound_ctrl:1// 00000000C380: 284A4AFA FF09182D
	v_or_b32_dpp v38, v46, v38 row_shr:8 row_mask:0xf bank_mask:0xf bound_ctrl:1// 00000000C388: 284C4CFA FF09182E
	v_or_b32_dpp v39, v47, v39 row_shr:8 row_mask:0xf bank_mask:0xf bound_ctrl:1// 00000000C390: 284E4EFA FF09182F
	v_or_b32_dpp v40, v48, v40 row_shr:8 row_mask:0xf bank_mask:0xf bound_ctrl:1// 00000000C398: 285050FA FF091830
	v_or_b32_dpp v41, v49, v41 row_shr:8 row_mask:0xf bank_mask:0xf bound_ctrl:1// 00000000C3A0: 285252FA FF091831
	v_or_b32_dpp v42, v50, v42 row_shr:8 row_mask:0xf bank_mask:0xf bound_ctrl:1// 00000000C3A8: 285454FA FF091832
	v_or_b32_dpp v43, v51, v43 row_shr:8 row_mask:0xf bank_mask:0xf bound_ctrl:1// 00000000C3B0: 285656FA FF091833
	v_mov_b32_dpp v168, v154 row_shr:4 row_mask:0xf bank_mask:0xf// 00000000C3B8: 7F5002FA FF01149A
	v_mov_b32_dpp v169, v154 row_shl:4 row_mask:0xf bank_mask:0xf// 00000000C3C0: 7F5202FA FF01049A
	v_cndmask_b32_e64 v164, v154, v168, s[2:3]                 // 00000000C3C8: D10000A4 000B519A
	v_cndmask_b32_e64 v165, v169, v154, s[2:3]                 // 00000000C3D0: D10000A5 000B35A9
	v_mov_b32_dpp v168, v156 row_shr:4 row_mask:0xf bank_mask:0xf// 00000000C3D8: 7F5002FA FF01149C
	v_mov_b32_dpp v169, v156 row_shl:4 row_mask:0xf bank_mask:0xf// 00000000C3E0: 7F5202FA FF01049C
	v_cndmask_b32_e64 v166, v156, v168, s[2:3]                 // 00000000C3E8: D10000A6 000B519C
	v_cndmask_b32_e64 v167, v169, v156, s[2:3]                 // 00000000C3F0: D10000A7 000B39A9
	v_pk_mul_f32 v[4:5], v[148:149], v[4:5]                    // 00000000C3F8: D3B14004 18020994
	v_pk_mul_f32 v[6:7], v[148:149], v[6:7]                    // 00000000C400: D3B14006 18020D94
	v_pk_mul_f32 v[8:9], v[148:149], v[8:9]                    // 00000000C408: D3B14008 18021194
	v_pk_mul_f32 v[10:11], v[148:149], v[10:11]                // 00000000C410: D3B1400A 18021594
	v_pk_mul_f32 v[12:13], v[148:149], v[12:13]                // 00000000C418: D3B1400C 18021994
	v_pk_mul_f32 v[14:15], v[148:149], v[14:15]                // 00000000C420: D3B1400E 18021D94
	v_pk_mul_f32 v[16:17], v[148:149], v[16:17]                // 00000000C428: D3B14010 18022194
	v_pk_mul_f32 v[18:19], v[148:149], v[18:19]                // 00000000C430: D3B14012 18022594
	v_mul_f32_dpp v4, v154, v4 row_newbcast:0 row_mask:0xf bank_mask:0xf// 00000000C438: 0A0808FA FF01509A
	v_mul_f32_dpp v5, v154, v5 row_newbcast:1 row_mask:0xf bank_mask:0xf// 00000000C440: 0A0A0AFA FF01519A
	v_mul_f32_dpp v6, v154, v6 row_newbcast:2 row_mask:0xf bank_mask:0xf// 00000000C448: 0A0C0CFA FF01529A
	v_mul_f32_dpp v7, v154, v7 row_newbcast:3 row_mask:0xf bank_mask:0xf// 00000000C450: 0A0E0EFA FF01539A
	v_mul_f32_dpp v8, v154, v8 row_newbcast:4 row_mask:0xf bank_mask:0xf// 00000000C458: 0A1010FA FF01549A
	v_mul_f32_dpp v9, v154, v9 row_newbcast:5 row_mask:0xf bank_mask:0xf// 00000000C460: 0A1212FA FF01559A
	v_mul_f32_dpp v10, v154, v10 row_newbcast:6 row_mask:0xf bank_mask:0xf// 00000000C468: 0A1414FA FF01569A
	v_mul_f32_dpp v11, v154, v11 row_newbcast:7 row_mask:0xf bank_mask:0xf// 00000000C470: 0A1616FA FF01579A
	v_mul_f32_dpp v12, v154, v12 row_newbcast:8 row_mask:0xf bank_mask:0xf// 00000000C478: 0A1818FA FF01589A
	v_mul_f32_dpp v13, v154, v13 row_newbcast:9 row_mask:0xf bank_mask:0xf// 00000000C480: 0A1A1AFA FF01599A
	v_mul_f32_dpp v14, v154, v14 row_newbcast:10 row_mask:0xf bank_mask:0xf// 00000000C488: 0A1C1CFA FF015A9A
	v_mul_f32_dpp v15, v154, v15 row_newbcast:11 row_mask:0xf bank_mask:0xf// 00000000C490: 0A1E1EFA FF015B9A
	v_mul_f32_dpp v16, v154, v16 row_newbcast:12 row_mask:0xf bank_mask:0xf// 00000000C498: 0A2020FA FF015C9A
	v_mul_f32_dpp v17, v154, v17 row_newbcast:13 row_mask:0xf bank_mask:0xf// 00000000C4A0: 0A2222FA FF015D9A
	v_mul_f32_dpp v18, v154, v18 row_newbcast:14 row_mask:0xf bank_mask:0xf// 00000000C4A8: 0A2424FA FF015E9A
	v_mul_f32_dpp v19, v154, v19 row_newbcast:15 row_mask:0xf bank_mask:0xf// 00000000C4B0: 0A2626FA FF015F9A
	v_pk_mul_f32 v[20:21], v[150:151], v[20:21]                // 00000000C4B8: D3B14014 18022996
	v_pk_mul_f32 v[22:23], v[150:151], v[22:23]                // 00000000C4C0: D3B14016 18022D96
	v_pk_mul_f32 v[24:25], v[150:151], v[24:25]                // 00000000C4C8: D3B14018 18023196
	v_pk_mul_f32 v[26:27], v[150:151], v[26:27]                // 00000000C4D0: D3B1401A 18023596
	v_pk_mul_f32 v[28:29], v[150:151], v[28:29]                // 00000000C4D8: D3B1401C 18023996
	v_pk_mul_f32 v[30:31], v[150:151], v[30:31]                // 00000000C4E0: D3B1401E 18023D96
	v_pk_mul_f32 v[32:33], v[150:151], v[32:33]                // 00000000C4E8: D3B14020 18024196
	v_pk_mul_f32 v[34:35], v[150:151], v[34:35]                // 00000000C4F0: D3B14022 18024596
	v_mul_f32_dpp v20, v154, v20 row_newbcast:0 row_mask:0xf bank_mask:0xf// 00000000C4F8: 0A2828FA FF01509A
	v_mul_f32_dpp v21, v154, v21 row_newbcast:1 row_mask:0xf bank_mask:0xf// 00000000C500: 0A2A2AFA FF01519A
	v_mul_f32_dpp v22, v154, v22 row_newbcast:2 row_mask:0xf bank_mask:0xf// 00000000C508: 0A2C2CFA FF01529A
	v_mul_f32_dpp v23, v154, v23 row_newbcast:3 row_mask:0xf bank_mask:0xf// 00000000C510: 0A2E2EFA FF01539A
	v_mul_f32_dpp v24, v154, v24 row_newbcast:4 row_mask:0xf bank_mask:0xf// 00000000C518: 0A3030FA FF01549A
	v_mul_f32_dpp v25, v154, v25 row_newbcast:5 row_mask:0xf bank_mask:0xf// 00000000C520: 0A3232FA FF01559A
	v_mul_f32_dpp v26, v154, v26 row_newbcast:6 row_mask:0xf bank_mask:0xf// 00000000C528: 0A3434FA FF01569A
	v_mul_f32_dpp v27, v154, v27 row_newbcast:7 row_mask:0xf bank_mask:0xf// 00000000C530: 0A3636FA FF01579A
	v_mul_f32_dpp v28, v154, v28 row_newbcast:8 row_mask:0xf bank_mask:0xf// 00000000C538: 0A3838FA FF01589A
	v_mul_f32_dpp v29, v154, v29 row_newbcast:9 row_mask:0xf bank_mask:0xf// 00000000C540: 0A3A3AFA FF01599A
	v_mul_f32_dpp v30, v154, v30 row_newbcast:10 row_mask:0xf bank_mask:0xf// 00000000C548: 0A3C3CFA FF015A9A
	v_mul_f32_dpp v31, v154, v31 row_newbcast:11 row_mask:0xf bank_mask:0xf// 00000000C550: 0A3E3EFA FF015B9A
	v_mul_f32_dpp v32, v154, v32 row_newbcast:12 row_mask:0xf bank_mask:0xf// 00000000C558: 0A4040FA FF015C9A
	v_mul_f32_dpp v33, v154, v33 row_newbcast:13 row_mask:0xf bank_mask:0xf// 00000000C560: 0A4242FA FF015D9A
	v_mul_f32_dpp v34, v154, v34 row_newbcast:14 row_mask:0xf bank_mask:0xf// 00000000C568: 0A4444FA FF015E9A
	v_mul_f32_dpp v35, v154, v35 row_newbcast:15 row_mask:0xf bank_mask:0xf// 00000000C570: 0A4646FA FF015F9A
	v_pk_mul_f32 v[36:37], v[152:153], v[36:37]                // 00000000C578: D3B14024 18024998
	v_pk_mul_f32 v[38:39], v[152:153], v[38:39]                // 00000000C580: D3B14026 18024D98
	v_pk_mul_f32 v[40:41], v[152:153], v[40:41]                // 00000000C588: D3B14028 18025198
	v_pk_mul_f32 v[42:43], v[152:153], v[42:43]                // 00000000C590: D3B1402A 18025598
	v_mul_f32_dpp v36, v164, v36 quad_perm:[0,0,0,0] row_mask:0xf bank_mask:0xf// 00000000C598: 0A4848FA FF0000A4
	v_mul_f32_dpp v37, v164, v37 quad_perm:[1,1,1,1] row_mask:0xf bank_mask:0xf// 00000000C5A0: 0A4A4AFA FF0055A4
	v_mul_f32_dpp v38, v164, v38 quad_perm:[2,2,2,2] row_mask:0xf bank_mask:0xf// 00000000C5A8: 0A4C4CFA FF00AAA4
	v_mul_f32_dpp v39, v164, v39 quad_perm:[3,3,3,3] row_mask:0xf bank_mask:0xf// 00000000C5B0: 0A4E4EFA FF00FFA4
	v_mul_f32_dpp v40, v165, v40 quad_perm:[0,0,0,0] row_mask:0xf bank_mask:0xf// 00000000C5B8: 0A5050FA FF0000A5
	v_mul_f32_dpp v41, v165, v41 quad_perm:[1,1,1,1] row_mask:0xf bank_mask:0xf// 00000000C5C0: 0A5252FA FF0055A5
	v_mul_f32_dpp v42, v165, v42 quad_perm:[2,2,2,2] row_mask:0xf bank_mask:0xf// 00000000C5C8: 0A5454FA FF00AAA5
	v_mul_f32_dpp v43, v165, v43 quad_perm:[3,3,3,3] row_mask:0xf bank_mask:0xf// 00000000C5D0: 0A5656FA FF00FFA5
	v_add_u32_e32 v168, s64, v222                              // 00000000C5D8: 6951BC40
	v_add_u32_e32 v169, 0, v168                                // 00000000C5DC: 69535080
	v_cmp_lt_u32_e64 s[98:99], v169, v219                      // 00000000C5E0: D0C90062 0003B7A9
	s_nop 0                                                    // 00000000C5E8: BF800000
	v_cndmask_b32_e64 v4, v225, v4, s[98:99]                   // 00000000C5EC: D1000004 018A09E1
	v_add_u32_e32 v169, 1, v168                                // 00000000C5F4: 69535081
	v_cmp_lt_u32_e64 s[98:99], v169, v219                      // 00000000C5F8: D0C90062 0003B7A9
	s_nop 0                                                    // 00000000C600: BF800000
	v_cndmask_b32_e64 v5, v225, v5, s[98:99]                   // 00000000C604: D1000005 018A0BE1
	v_add_u32_e32 v169, 2, v168                                // 00000000C60C: 69535082
	v_cmp_lt_u32_e64 s[98:99], v169, v219                      // 00000000C610: D0C90062 0003B7A9
	s_nop 0                                                    // 00000000C618: BF800000
	v_cndmask_b32_e64 v6, v225, v6, s[98:99]                   // 00000000C61C: D1000006 018A0DE1
	v_add_u32_e32 v169, 3, v168                                // 00000000C624: 69535083
	v_cmp_lt_u32_e64 s[98:99], v169, v219                      // 00000000C628: D0C90062 0003B7A9
	s_nop 0                                                    // 00000000C630: BF800000
	v_cndmask_b32_e64 v7, v225, v7, s[98:99]                   // 00000000C634: D1000007 018A0FE1
	v_add_u32_e32 v169, 64, v168                               // 00000000C63C: 695350C0
	v_cmp_lt_u32_e64 s[98:99], v169, v219                      // 00000000C640: D0C90062 0003B7A9
	s_nop 0                                                    // 00000000C648: BF800000
	v_cndmask_b32_e64 v8, v225, v8, s[98:99]                   // 00000000C64C: D1000008 018A11E1
	v_add_u32_e32 v169, 0x41, v168                             // 00000000C654: 695350FF 00000041
	v_cmp_lt_u32_e64 s[98:99], v169, v219                      // 00000000C65C: D0C90062 0003B7A9
	s_nop 0                                                    // 00000000C664: BF800000
	v_cndmask_b32_e64 v9, v225, v9, s[98:99]                   // 00000000C668: D1000009 018A13E1
	v_add_u32_e32 v169, 0x42, v168                             // 00000000C670: 695350FF 00000042
	v_cmp_lt_u32_e64 s[98:99], v169, v219                      // 00000000C678: D0C90062 0003B7A9
	s_nop 0                                                    // 00000000C680: BF800000
	v_cndmask_b32_e64 v10, v225, v10, s[98:99]                 // 00000000C684: D100000A 018A15E1
	v_add_u32_e32 v169, 0x43, v168                             // 00000000C68C: 695350FF 00000043
	v_cmp_lt_u32_e64 s[98:99], v169, v219                      // 00000000C694: D0C90062 0003B7A9
	s_nop 0                                                    // 00000000C69C: BF800000
	v_cndmask_b32_e64 v11, v225, v11, s[98:99]                 // 00000000C6A0: D100000B 018A17E1
	v_add_u32_e32 v169, 0x80, v168                             // 00000000C6A8: 695350FF 00000080
	v_cmp_lt_u32_e64 s[98:99], v169, v219                      // 00000000C6B0: D0C90062 0003B7A9
	s_nop 0                                                    // 00000000C6B8: BF800000
	v_cndmask_b32_e64 v12, v225, v12, s[98:99]                 // 00000000C6BC: D100000C 018A19E1
	v_add_u32_e32 v169, 0x81, v168                             // 00000000C6C4: 695350FF 00000081
	v_cmp_lt_u32_e64 s[98:99], v169, v219                      // 00000000C6CC: D0C90062 0003B7A9
	s_nop 0                                                    // 00000000C6D4: BF800000
	v_cndmask_b32_e64 v13, v225, v13, s[98:99]                 // 00000000C6D8: D100000D 018A1BE1
	v_add_u32_e32 v169, 0x82, v168                             // 00000000C6E0: 695350FF 00000082
	v_cmp_lt_u32_e64 s[98:99], v169, v219                      // 00000000C6E8: D0C90062 0003B7A9
	s_nop 0                                                    // 00000000C6F0: BF800000
	v_cndmask_b32_e64 v14, v225, v14, s[98:99]                 // 00000000C6F4: D100000E 018A1DE1
	v_add_u32_e32 v169, 0x83, v168                             // 00000000C6FC: 695350FF 00000083
	v_cmp_lt_u32_e64 s[98:99], v169, v219                      // 00000000C704: D0C90062 0003B7A9
	s_nop 0                                                    // 00000000C70C: BF800000
	v_cndmask_b32_e64 v15, v225, v15, s[98:99]                 // 00000000C710: D100000F 018A1FE1
	v_add_u32_e32 v169, 0xc0, v168                             // 00000000C718: 695350FF 000000C0
	v_cmp_lt_u32_e64 s[98:99], v169, v219                      // 00000000C720: D0C90062 0003B7A9
	s_nop 0                                                    // 00000000C728: BF800000
	v_cndmask_b32_e64 v16, v225, v16, s[98:99]                 // 00000000C72C: D1000010 018A21E1
	v_add_u32_e32 v169, 0xc1, v168                             // 00000000C734: 695350FF 000000C1
	v_cmp_lt_u32_e64 s[98:99], v169, v219                      // 00000000C73C: D0C90062 0003B7A9
	s_nop 0                                                    // 00000000C744: BF800000
	v_cndmask_b32_e64 v17, v225, v17, s[98:99]                 // 00000000C748: D1000011 018A23E1
	v_add_u32_e32 v169, 0xc2, v168                             // 00000000C750: 695350FF 000000C2
	v_cmp_lt_u32_e64 s[98:99], v169, v219                      // 00000000C758: D0C90062 0003B7A9
	s_nop 0                                                    // 00000000C760: BF800000
	v_cndmask_b32_e64 v18, v225, v18, s[98:99]                 // 00000000C764: D1000012 018A25E1
	v_add_u32_e32 v169, 0xc3, v168                             // 00000000C76C: 695350FF 000000C3
	v_cmp_lt_u32_e64 s[98:99], v169, v219                      // 00000000C774: D0C90062 0003B7A9
	s_nop 0                                                    // 00000000C77C: BF800000
	v_cndmask_b32_e64 v19, v225, v19, s[98:99]                 // 00000000C780: D1000013 018A27E1
	v_add_u32_e32 v169, 0, v168                                // 00000000C788: 69535080
	v_cmp_lt_u32_e64 s[98:99], v169, v220                      // 00000000C78C: D0C90062 0003B9A9
	s_nop 0                                                    // 00000000C794: BF800000
	v_cndmask_b32_e64 v20, v225, v20, s[98:99]                 // 00000000C798: D1000014 018A29E1
	v_add_u32_e32 v169, 1, v168                                // 00000000C7A0: 69535081
	v_cmp_lt_u32_e64 s[98:99], v169, v220                      // 00000000C7A4: D0C90062 0003B9A9
	s_nop 0                                                    // 00000000C7AC: BF800000
	v_cndmask_b32_e64 v21, v225, v21, s[98:99]                 // 00000000C7B0: D1000015 018A2BE1
	v_add_u32_e32 v169, 2, v168                                // 00000000C7B8: 69535082
	v_cmp_lt_u32_e64 s[98:99], v169, v220                      // 00000000C7BC: D0C90062 0003B9A9
	s_nop 0                                                    // 00000000C7C4: BF800000
	v_cndmask_b32_e64 v22, v225, v22, s[98:99]                 // 00000000C7C8: D1000016 018A2DE1
	v_add_u32_e32 v169, 3, v168                                // 00000000C7D0: 69535083
	v_cmp_lt_u32_e64 s[98:99], v169, v220                      // 00000000C7D4: D0C90062 0003B9A9
	s_nop 0                                                    // 00000000C7DC: BF800000
	v_cndmask_b32_e64 v23, v225, v23, s[98:99]                 // 00000000C7E0: D1000017 018A2FE1
	v_add_u32_e32 v169, 64, v168                               // 00000000C7E8: 695350C0
	v_cmp_lt_u32_e64 s[98:99], v169, v220                      // 00000000C7EC: D0C90062 0003B9A9
	s_nop 0                                                    // 00000000C7F4: BF800000
	v_cndmask_b32_e64 v24, v225, v24, s[98:99]                 // 00000000C7F8: D1000018 018A31E1
	v_add_u32_e32 v169, 0x41, v168                             // 00000000C800: 695350FF 00000041
	v_cmp_lt_u32_e64 s[98:99], v169, v220                      // 00000000C808: D0C90062 0003B9A9
	s_nop 0                                                    // 00000000C810: BF800000
	v_cndmask_b32_e64 v25, v225, v25, s[98:99]                 // 00000000C814: D1000019 018A33E1
	v_add_u32_e32 v169, 0x42, v168                             // 00000000C81C: 695350FF 00000042
	v_cmp_lt_u32_e64 s[98:99], v169, v220                      // 00000000C824: D0C90062 0003B9A9
	s_nop 0                                                    // 00000000C82C: BF800000
	v_cndmask_b32_e64 v26, v225, v26, s[98:99]                 // 00000000C830: D100001A 018A35E1
	v_add_u32_e32 v169, 0x43, v168                             // 00000000C838: 695350FF 00000043
	v_cmp_lt_u32_e64 s[98:99], v169, v220                      // 00000000C840: D0C90062 0003B9A9
	s_nop 0                                                    // 00000000C848: BF800000
	v_cndmask_b32_e64 v27, v225, v27, s[98:99]                 // 00000000C84C: D100001B 018A37E1
	v_add_u32_e32 v169, 0x80, v168                             // 00000000C854: 695350FF 00000080
	v_cmp_lt_u32_e64 s[98:99], v169, v220                      // 00000000C85C: D0C90062 0003B9A9
	s_nop 0                                                    // 00000000C864: BF800000
	v_cndmask_b32_e64 v28, v225, v28, s[98:99]                 // 00000000C868: D100001C 018A39E1
	v_add_u32_e32 v169, 0x81, v168                             // 00000000C870: 695350FF 00000081
	v_cmp_lt_u32_e64 s[98:99], v169, v220                      // 00000000C878: D0C90062 0003B9A9
	s_nop 0                                                    // 00000000C880: BF800000
	v_cndmask_b32_e64 v29, v225, v29, s[98:99]                 // 00000000C884: D100001D 018A3BE1
	v_add_u32_e32 v169, 0x82, v168                             // 00000000C88C: 695350FF 00000082
	v_cmp_lt_u32_e64 s[98:99], v169, v220                      // 00000000C894: D0C90062 0003B9A9
	s_nop 0                                                    // 00000000C89C: BF800000
	v_cndmask_b32_e64 v30, v225, v30, s[98:99]                 // 00000000C8A0: D100001E 018A3DE1
	v_add_u32_e32 v169, 0x83, v168                             // 00000000C8A8: 695350FF 00000083
	v_cmp_lt_u32_e64 s[98:99], v169, v220                      // 00000000C8B0: D0C90062 0003B9A9
	s_nop 0                                                    // 00000000C8B8: BF800000
	v_cndmask_b32_e64 v31, v225, v31, s[98:99]                 // 00000000C8BC: D100001F 018A3FE1
	v_add_u32_e32 v169, 0xc0, v168                             // 00000000C8C4: 695350FF 000000C0
	v_cmp_lt_u32_e64 s[98:99], v169, v220                      // 00000000C8CC: D0C90062 0003B9A9
	s_nop 0                                                    // 00000000C8D4: BF800000
	v_cndmask_b32_e64 v32, v225, v32, s[98:99]                 // 00000000C8D8: D1000020 018A41E1
	v_add_u32_e32 v169, 0xc1, v168                             // 00000000C8E0: 695350FF 000000C1
	v_cmp_lt_u32_e64 s[98:99], v169, v220                      // 00000000C8E8: D0C90062 0003B9A9
	s_nop 0                                                    // 00000000C8F0: BF800000
	v_cndmask_b32_e64 v33, v225, v33, s[98:99]                 // 00000000C8F4: D1000021 018A43E1
	v_add_u32_e32 v169, 0xc2, v168                             // 00000000C8FC: 695350FF 000000C2
	v_cmp_lt_u32_e64 s[98:99], v169, v220                      // 00000000C904: D0C90062 0003B9A9
	s_nop 0                                                    // 00000000C90C: BF800000
	v_cndmask_b32_e64 v34, v225, v34, s[98:99]                 // 00000000C910: D1000022 018A45E1
	v_add_u32_e32 v169, 0xc3, v168                             // 00000000C918: 695350FF 000000C3
	v_cmp_lt_u32_e64 s[98:99], v169, v220                      // 00000000C920: D0C90062 0003B9A9
	s_nop 0                                                    // 00000000C928: BF800000
	v_cndmask_b32_e64 v35, v225, v35, s[98:99]                 // 00000000C92C: D1000023 018A47E1
	v_add_u32_e32 v168, s64, v223                              // 00000000C934: 6951BE40
	v_add_u32_e32 v169, 0, v168                                // 00000000C938: 69535080
	v_cmp_lt_u32_e64 s[98:99], v169, v221                      // 00000000C93C: D0C90062 0003BBA9
	s_nop 0                                                    // 00000000C944: BF800000
	v_cndmask_b32_e64 v36, v225, v36, s[98:99]                 // 00000000C948: D1000024 018A49E1
	v_add_u32_e32 v169, 1, v168                                // 00000000C950: 69535081
	v_cmp_lt_u32_e64 s[98:99], v169, v221                      // 00000000C954: D0C90062 0003BBA9
	s_nop 0                                                    // 00000000C95C: BF800000
	v_cndmask_b32_e64 v37, v225, v37, s[98:99]                 // 00000000C960: D1000025 018A4BE1
	v_add_u32_e32 v169, 2, v168                                // 00000000C968: 69535082
	v_cmp_lt_u32_e64 s[98:99], v169, v221                      // 00000000C96C: D0C90062 0003BBA9
	s_nop 0                                                    // 00000000C974: BF800000
	v_cndmask_b32_e64 v38, v225, v38, s[98:99]                 // 00000000C978: D1000026 018A4DE1
	v_add_u32_e32 v169, 3, v168                                // 00000000C980: 69535083
	v_cmp_lt_u32_e64 s[98:99], v169, v221                      // 00000000C984: D0C90062 0003BBA9
	s_nop 0                                                    // 00000000C98C: BF800000
	v_cndmask_b32_e64 v39, v225, v39, s[98:99]                 // 00000000C990: D1000027 018A4FE1
	v_add_u32_e32 v169, 64, v168                               // 00000000C998: 695350C0
	v_cmp_lt_u32_e64 s[98:99], v169, v221                      // 00000000C99C: D0C90062 0003BBA9
	s_nop 0                                                    // 00000000C9A4: BF800000
	v_cndmask_b32_e64 v40, v225, v40, s[98:99]                 // 00000000C9A8: D1000028 018A51E1
	v_add_u32_e32 v169, 0x41, v168                             // 00000000C9B0: 695350FF 00000041
	v_cmp_lt_u32_e64 s[98:99], v169, v221                      // 00000000C9B8: D0C90062 0003BBA9
	s_nop 0                                                    // 00000000C9C0: BF800000
	v_cndmask_b32_e64 v41, v225, v41, s[98:99]                 // 00000000C9C4: D1000029 018A53E1
	v_add_u32_e32 v169, 0x42, v168                             // 00000000C9CC: 695350FF 00000042
	v_cmp_lt_u32_e64 s[98:99], v169, v221                      // 00000000C9D4: D0C90062 0003BBA9
	s_nop 0                                                    // 00000000C9DC: BF800000
	v_cndmask_b32_e64 v42, v225, v42, s[98:99]                 // 00000000C9E0: D100002A 018A55E1
	v_add_u32_e32 v169, 0x43, v168                             // 00000000C9E8: 695350FF 00000043
	v_cmp_lt_u32_e64 s[98:99], v169, v221                      // 00000000C9F0: D0C90062 0003BBA9
	s_nop 0                                                    // 00000000C9F8: BF800000
	v_cndmask_b32_e64 v43, v225, v43, s[98:99]                 // 00000000C9FC: D100002B 018A57E1
	v_mov_b32_e32 v190, v36                                    // 00000000CA04: 7F7C0324
	v_max3_f32 v190, v36, v37, v190                            // 00000000CA08: D1D300BE 06FA4B24
	v_max3_f32 v190, v38, v39, v190                            // 00000000CA10: D1D300BE 06FA4F26
	v_max3_f32 v190, v40, v41, v190                            // 00000000CA18: D1D300BE 06FA5328
	v_max3_f32 v190, v42, v43, v190                            // 00000000CA20: D1D300BE 06FA572A
	v_mov_b32_e32 v189, v20                                    // 00000000CA28: 7F7A0314
	v_max3_f32 v189, v20, v21, v189                            // 00000000CA2C: D1D300BD 06F62B14
	v_max3_f32 v189, v22, v23, v189                            // 00000000CA34: D1D300BD 06F62F16
	v_max3_f32 v189, v24, v25, v189                            // 00000000CA3C: D1D300BD 06F63318
	v_max3_f32 v189, v26, v27, v189                            // 00000000CA44: D1D300BD 06F6371A
	v_max3_f32 v189, v28, v29, v189                            // 00000000CA4C: D1D300BD 06F63B1C
	v_max3_f32 v189, v30, v31, v189                            // 00000000CA54: D1D300BD 06F63F1E
	v_max3_f32 v189, v32, v33, v189                            // 00000000CA5C: D1D300BD 06F64320
	v_max3_f32 v189, v34, v35, v189                            // 00000000CA64: D1D300BD 06F64722
	v_mov_b32_e32 v188, v4                                     // 00000000CA6C: 7F780304
	v_max3_f32 v188, v4, v5, v188                              // 00000000CA70: D1D300BC 06F20B04
	v_max3_f32 v188, v6, v7, v188                              // 00000000CA78: D1D300BC 06F20F06
	v_max3_f32 v188, v8, v9, v188                              // 00000000CA80: D1D300BC 06F21308
	v_max3_f32 v188, v10, v11, v188                            // 00000000CA88: D1D300BC 06F2170A
	v_max3_f32 v188, v12, v13, v188                            // 00000000CA90: D1D300BC 06F21B0C
	v_max3_f32 v188, v14, v15, v188                            // 00000000CA98: D1D300BC 06F21F0E
	v_max3_f32 v188, v16, v17, v188                            // 00000000CAA0: D1D300BC 06F22310
	v_max3_f32 v188, v18, v19, v188                            // 00000000CAA8: D1D300BC 06F22712
	v_max_f32_dpp v190, v190, v190 row_ror:8 row_mask:0xf bank_mask:0xf// 00000000CAB0: 177D7CFA FF0128BE
	ds_bpermute_b32 v172, v212, v188                           // 00000000CAB8: D87E0000 AC00BCD4
	ds_bpermute_b32 v173, v213, v188                           // 00000000CAC0: D87E0000 AD00BCD5
	ds_bpermute_b32 v174, v214, v188                           // 00000000CAC8: D87E0000 AE00BCD6
	ds_bpermute_b32 v175, v212, v189                           // 00000000CAD0: D87E0000 AF00BDD4
	ds_bpermute_b32 v176, v213, v189                           // 00000000CAD8: D87E0000 B000BDD5
	ds_bpermute_b32 v177, v214, v189                           // 00000000CAE0: D87E0000 B100BDD6
	ds_bpermute_b32 v178, v212, v190                           // 00000000CAE8: D87E0000 B200BED4
	ds_bpermute_b32 v179, v213, v190                           // 00000000CAF0: D87E0000 B300BED5
	ds_bpermute_b32 v180, v214, v190                           // 00000000CAF8: D87E0000 B400BED6
	v_pk_mul_f32 v[124:125], v[200:201], v[124:125]            // 00000000CB00: D3B1407C 1802F9C8
	v_pk_mul_f32 v[126:127], v[200:201], v[126:127]            // 00000000CB08: D3B1407E 1802FDC8
	v_pk_mul_f32 v[128:129], v[200:201], v[128:129]            // 00000000CB10: D3B14080 180301C8
	v_pk_mul_f32 v[130:131], v[200:201], v[130:131]            // 00000000CB18: D3B14082 180305C8
	v_pk_mul_f32 v[132:133], v[202:203], v[132:133]            // 00000000CB20: D3B14084 180309CA
	v_pk_mul_f32 v[134:135], v[202:203], v[134:135]            // 00000000CB28: D3B14086 18030DCA
	v_pk_mul_f32 v[136:137], v[202:203], v[136:137]            // 00000000CB30: D3B14088 180311CA
	v_pk_mul_f32 v[138:139], v[202:203], v[138:139]            // 00000000CB38: D3B1408A 180315CA
	v_pk_mul_f32 v[140:141], v[204:205], v[140:141]            // 00000000CB40: D3B1408C 180319CC
	v_pk_mul_f32 v[142:143], v[204:205], v[142:143]            // 00000000CB48: D3B1408E 18031DCC
	v_pk_mul_f32 v[144:145], v[204:205], v[144:145]            // 00000000CB50: D3B14090 180321CC
	v_pk_mul_f32 v[146:147], v[204:205], v[146:147]            // 00000000CB58: D3B14092 180325CC
	s_waitcnt lgkmcnt(6)                                       // 00000000CB60: BF8CC67F
	v_max3_f32 v188, v172, v173, v188                          // 00000000CB64: D1D300BC 06F35BAC
	v_max_f32_e32 v188, v174, v188                             // 00000000CB6C: 177979AE
	s_waitcnt lgkmcnt(3)                                       // 00000000CB70: BF8CC37F
	v_max3_f32 v189, v175, v176, v189                          // 00000000CB74: D1D300BD 06F761AF
	v_max_f32_e32 v189, v177, v189                             // 00000000CB7C: 177B7BB1
	s_waitcnt lgkmcnt(0)                                       // 00000000CB80: BF8CC07F
	v_max3_f32 v190, v178, v179, v190                          // 00000000CB84: D1D300BE 06FB67B2
	v_max_f32_e32 v190, v180, v190                             // 00000000CB8C: 177D7DB4
	ds_write_b128 v252, v[188:191]                             // 00000000CB90: D9BE0000 0000BCFC
	s_waitcnt lgkmcnt(0)                                       // 00000000CB98: BF8CC07F
	s_barrier                                                  // 00000000CB9C: BF8A0000
	ds_read_b128 v[172:175], v253                              // 00000000CBA0: D9FE0000 AC0000FD
	ds_read_b128 v[176:179], v253 offset:256                   // 00000000CBA8: D9FE0100 B00000FD
	ds_read_b128 v[180:183], v253 offset:512                   // 00000000CBB0: D9FE0200 B40000FD
	ds_read_b128 v[184:187], v253 offset:768                   // 00000000CBB8: D9FE0300 B80000FD
	v_pk_mul_f32 v[100:101], v[158:159], v[100:101]            // 00000000CBC0: D3B14064 1802C99E
	v_pk_mul_f32 v[102:103], v[158:159], v[102:103]            // 00000000CBC8: D3B14066 1802CD9E
	v_pk_mul_f32 v[104:105], v[158:159], v[104:105]            // 00000000CBD0: D3B14068 1802D19E
	v_pk_mul_f32 v[106:107], v[158:159], v[106:107]            // 00000000CBD8: D3B1406A 1802D59E
	v_pk_mul_f32 v[108:109], v[160:161], v[108:109]            // 00000000CBE0: D3B1406C 1802D9A0
	v_pk_mul_f32 v[110:111], v[160:161], v[110:111]            // 00000000CBE8: D3B1406E 1802DDA0
	v_pk_mul_f32 v[112:113], v[160:161], v[112:113]            // 00000000CBF0: D3B14070 1802E1A0
	v_pk_mul_f32 v[114:115], v[160:161], v[114:115]            // 00000000CBF8: D3B14072 1802E5A0
	v_pk_mul_f32 v[116:117], v[162:163], v[116:117]            // 00000000CC00: D3B14074 1802E9A2
	v_pk_mul_f32 v[118:119], v[162:163], v[118:119]            // 00000000CC08: D3B14076 1802EDA2
	v_pk_mul_f32 v[120:121], v[162:163], v[120:121]            // 00000000CC10: D3B14078 1802F1A2
	v_pk_mul_f32 v[122:123], v[162:163], v[122:123]            // 00000000CC18: D3B1407A 1802F5A2
	s_waitcnt lgkmcnt(0)                                       // 00000000CC20: BF8CC07F
	v_max3_f32 v188, v172, v176, v188                          // 00000000CC24: D1D300BC 06F361AC
	v_max3_f32 v189, v173, v177, v189                          // 00000000CC2C: D1D300BD 06F763AD
	v_max3_f32 v190, v174, v178, v190                          // 00000000CC34: D1D300BE 06FB65AE
	v_max3_f32 v188, v180, v184, v188                          // 00000000CC3C: D1D300BC 06F371B4
	v_max3_f32 v189, v181, v185, v189                          // 00000000CC44: D1D300BD 06F773B5
	v_max3_f32 v190, v182, v186, v190                          // 00000000CC4C: D1D300BE 06FB75B6
	v_max_f32_e32 v197, v188, v194                             // 00000000CC54: 178B85BC
	v_mul_f32_e64 v168, -s46, v197                             // 00000000CC58: D10500A8 20038A2E
	v_mov_b32_e32 v169, v168                                   // 00000000CC60: 7F5203A8
	v_pk_fma_f32 v[4:5], v[4:5], s[46:47], v[168:169]          // 00000000CC64: D3B04004 1EA05D04
	v_pk_fma_f32 v[6:7], v[6:7], s[46:47], v[168:169]          // 00000000CC6C: D3B04006 1EA05D06
	v_exp_f32_e32 v4, v4                                       // 00000000CC74: 7E084104
	v_exp_f32_e32 v5, v5                                       // 00000000CC78: 7E0A4105
	v_exp_f32_e32 v6, v6                                       // 00000000CC7C: 7E0C4106
	v_exp_f32_e32 v7, v7                                       // 00000000CC80: 7E0E4107
	v_pk_fma_f32 v[8:9], v[8:9], s[46:47], v[168:169]          // 00000000CC84: D3B04008 1EA05D08
	v_pk_fma_f32 v[10:11], v[10:11], s[46:47], v[168:169]      // 00000000CC8C: D3B0400A 1EA05D0A
	v_exp_f32_e32 v8, v8                                       // 00000000CC94: 7E104108
	v_exp_f32_e32 v9, v9                                       // 00000000CC98: 7E124109
	v_exp_f32_e32 v10, v10                                     // 00000000CC9C: 7E14410A
	v_exp_f32_e32 v11, v11                                     // 00000000CCA0: 7E16410B
	v_pk_fma_f32 v[12:13], v[12:13], s[46:47], v[168:169]      // 00000000CCA4: D3B0400C 1EA05D0C
	v_pk_fma_f32 v[14:15], v[14:15], s[46:47], v[168:169]      // 00000000CCAC: D3B0400E 1EA05D0E
	v_exp_f32_e32 v12, v12                                     // 00000000CCB4: 7E18410C
	v_exp_f32_e32 v13, v13                                     // 00000000CCB8: 7E1A410D
	v_exp_f32_e32 v14, v14                                     // 00000000CCBC: 7E1C410E
	v_exp_f32_e32 v15, v15                                     // 00000000CCC0: 7E1E410F
	v_pk_fma_f32 v[16:17], v[16:17], s[46:47], v[168:169]      // 00000000CCC4: D3B04010 1EA05D10
	v_pk_fma_f32 v[18:19], v[18:19], s[46:47], v[168:169]      // 00000000CCCC: D3B04012 1EA05D12
	v_exp_f32_e32 v16, v16                                     // 00000000CCD4: 7E204110
	v_exp_f32_e32 v17, v17                                     // 00000000CCD8: 7E224111
	v_exp_f32_e32 v18, v18                                     // 00000000CCDC: 7E244112
	v_exp_f32_e32 v19, v19                                     // 00000000CCE0: 7E264113
	v_max_f32_e32 v198, v189, v195                             // 00000000CCE4: 178D87BD
	v_mul_f32_e64 v168, -s46, v198                             // 00000000CCE8: D10500A8 20038C2E
	v_mov_b32_e32 v169, v168                                   // 00000000CCF0: 7F5203A8
	v_pk_fma_f32 v[20:21], v[20:21], s[46:47], v[168:169]      // 00000000CCF4: D3B04014 1EA05D14
	v_pk_fma_f32 v[22:23], v[22:23], s[46:47], v[168:169]      // 00000000CCFC: D3B04016 1EA05D16
	v_exp_f32_e32 v20, v20                                     // 00000000CD04: 7E284114
	v_exp_f32_e32 v21, v21                                     // 00000000CD08: 7E2A4115
	v_exp_f32_e32 v22, v22                                     // 00000000CD0C: 7E2C4116
	v_exp_f32_e32 v23, v23                                     // 00000000CD10: 7E2E4117
	v_pk_fma_f32 v[24:25], v[24:25], s[46:47], v[168:169]      // 00000000CD14: D3B04018 1EA05D18
	v_pk_fma_f32 v[26:27], v[26:27], s[46:47], v[168:169]      // 00000000CD1C: D3B0401A 1EA05D1A
	v_exp_f32_e32 v24, v24                                     // 00000000CD24: 7E304118
	v_exp_f32_e32 v25, v25                                     // 00000000CD28: 7E324119
	v_exp_f32_e32 v26, v26                                     // 00000000CD2C: 7E34411A
	v_exp_f32_e32 v27, v27                                     // 00000000CD30: 7E36411B
	v_pk_fma_f32 v[28:29], v[28:29], s[46:47], v[168:169]      // 00000000CD34: D3B0401C 1EA05D1C
	v_pk_fma_f32 v[30:31], v[30:31], s[46:47], v[168:169]      // 00000000CD3C: D3B0401E 1EA05D1E
	v_exp_f32_e32 v28, v28                                     // 00000000CD44: 7E38411C
	v_exp_f32_e32 v29, v29                                     // 00000000CD48: 7E3A411D
	v_exp_f32_e32 v30, v30                                     // 00000000CD4C: 7E3C411E
	v_exp_f32_e32 v31, v31                                     // 00000000CD50: 7E3E411F
	v_pk_fma_f32 v[32:33], v[32:33], s[46:47], v[168:169]      // 00000000CD54: D3B04020 1EA05D20
	v_pk_fma_f32 v[34:35], v[34:35], s[46:47], v[168:169]      // 00000000CD5C: D3B04022 1EA05D22
	v_exp_f32_e32 v32, v32                                     // 00000000CD64: 7E404120
	v_exp_f32_e32 v33, v33                                     // 00000000CD68: 7E424121
	v_exp_f32_e32 v34, v34                                     // 00000000CD6C: 7E444122
	v_exp_f32_e32 v35, v35                                     // 00000000CD70: 7E464123
	v_max_f32_e32 v199, v190, v196                             // 00000000CD74: 178F89BE
	v_mul_f32_e64 v168, -s46, v199                             // 00000000CD78: D10500A8 20038E2E
	v_mov_b32_e32 v169, v168                                   // 00000000CD80: 7F5203A8
	v_pk_fma_f32 v[36:37], v[36:37], s[46:47], v[168:169]      // 00000000CD84: D3B04024 1EA05D24
	v_pk_fma_f32 v[38:39], v[38:39], s[46:47], v[168:169]      // 00000000CD8C: D3B04026 1EA05D26
	v_exp_f32_e32 v36, v36                                     // 00000000CD94: 7E484124
	v_exp_f32_e32 v37, v37                                     // 00000000CD98: 7E4A4125
	v_exp_f32_e32 v38, v38                                     // 00000000CD9C: 7E4C4126
	v_exp_f32_e32 v39, v39                                     // 00000000CDA0: 7E4E4127
	v_pk_fma_f32 v[40:41], v[40:41], s[46:47], v[168:169]      // 00000000CDA4: D3B04028 1EA05D28
	v_pk_fma_f32 v[42:43], v[42:43], s[46:47], v[168:169]      // 00000000CDAC: D3B0402A 1EA05D2A
	v_exp_f32_e32 v40, v40                                     // 00000000CDB4: 7E504128
	v_exp_f32_e32 v41, v41                                     // 00000000CDB8: 7E524129
	v_exp_f32_e32 v42, v42                                     // 00000000CDBC: 7E54412A
	v_exp_f32_e32 v43, v43                                     // 00000000CDC0: 7E56412B
	v_mul_f32_dpp v52, v156, v4 row_newbcast:0 row_mask:0xf bank_mask:0xf// 00000000CDC4: 0A6808FA FF01509C
	v_mul_f32_dpp v53, v156, v5 row_newbcast:1 row_mask:0xf bank_mask:0xf// 00000000CDCC: 0A6A0AFA FF01519C
	v_mul_f32_dpp v54, v156, v6 row_newbcast:2 row_mask:0xf bank_mask:0xf// 00000000CDD4: 0A6C0CFA FF01529C
	v_mul_f32_dpp v55, v156, v7 row_newbcast:3 row_mask:0xf bank_mask:0xf// 00000000CDDC: 0A6E0EFA FF01539C
	v_mul_f32_dpp v56, v156, v8 row_newbcast:4 row_mask:0xf bank_mask:0xf// 00000000CDE4: 0A7010FA FF01549C
	v_mul_f32_dpp v57, v156, v9 row_newbcast:5 row_mask:0xf bank_mask:0xf// 00000000CDEC: 0A7212FA FF01559C
	v_mul_f32_dpp v58, v156, v10 row_newbcast:6 row_mask:0xf bank_mask:0xf// 00000000CDF4: 0A7414FA FF01569C
	v_mul_f32_dpp v59, v156, v11 row_newbcast:7 row_mask:0xf bank_mask:0xf// 00000000CDFC: 0A7616FA FF01579C
	v_mul_f32_dpp v60, v156, v12 row_newbcast:8 row_mask:0xf bank_mask:0xf// 00000000CE04: 0A7818FA FF01589C
	v_mul_f32_dpp v61, v156, v13 row_newbcast:9 row_mask:0xf bank_mask:0xf// 00000000CE0C: 0A7A1AFA FF01599C
	v_mul_f32_dpp v62, v156, v14 row_newbcast:10 row_mask:0xf bank_mask:0xf// 00000000CE14: 0A7C1CFA FF015A9C
	v_mul_f32_dpp v63, v156, v15 row_newbcast:11 row_mask:0xf bank_mask:0xf// 00000000CE1C: 0A7E1EFA FF015B9C
	v_mul_f32_dpp v64, v156, v16 row_newbcast:12 row_mask:0xf bank_mask:0xf// 00000000CE24: 0A8020FA FF015C9C
	v_mul_f32_dpp v65, v156, v17 row_newbcast:13 row_mask:0xf bank_mask:0xf// 00000000CE2C: 0A8222FA FF015D9C
	v_mul_f32_dpp v66, v156, v18 row_newbcast:14 row_mask:0xf bank_mask:0xf// 00000000CE34: 0A8424FA FF015E9C
	v_mul_f32_dpp v67, v156, v19 row_newbcast:15 row_mask:0xf bank_mask:0xf// 00000000CE3C: 0A8626FA FF015F9C
	v_mul_f32_dpp v68, v156, v20 row_newbcast:0 row_mask:0xf bank_mask:0xf// 00000000CE44: 0A8828FA FF01509C
	v_mul_f32_dpp v69, v156, v21 row_newbcast:1 row_mask:0xf bank_mask:0xf// 00000000CE4C: 0A8A2AFA FF01519C
	v_mul_f32_dpp v70, v156, v22 row_newbcast:2 row_mask:0xf bank_mask:0xf// 00000000CE54: 0A8C2CFA FF01529C
	v_mul_f32_dpp v71, v156, v23 row_newbcast:3 row_mask:0xf bank_mask:0xf// 00000000CE5C: 0A8E2EFA FF01539C
	v_mul_f32_dpp v72, v156, v24 row_newbcast:4 row_mask:0xf bank_mask:0xf// 00000000CE64: 0A9030FA FF01549C
	v_mul_f32_dpp v73, v156, v25 row_newbcast:5 row_mask:0xf bank_mask:0xf// 00000000CE6C: 0A9232FA FF01559C
	v_mul_f32_dpp v74, v156, v26 row_newbcast:6 row_mask:0xf bank_mask:0xf// 00000000CE74: 0A9434FA FF01569C
	v_mul_f32_dpp v75, v156, v27 row_newbcast:7 row_mask:0xf bank_mask:0xf// 00000000CE7C: 0A9636FA FF01579C
	v_mul_f32_dpp v76, v156, v28 row_newbcast:8 row_mask:0xf bank_mask:0xf// 00000000CE84: 0A9838FA FF01589C
	v_mul_f32_dpp v77, v156, v29 row_newbcast:9 row_mask:0xf bank_mask:0xf// 00000000CE8C: 0A9A3AFA FF01599C
	v_mul_f32_dpp v78, v156, v30 row_newbcast:10 row_mask:0xf bank_mask:0xf// 00000000CE94: 0A9C3CFA FF015A9C
	v_mul_f32_dpp v79, v156, v31 row_newbcast:11 row_mask:0xf bank_mask:0xf// 00000000CE9C: 0A9E3EFA FF015B9C
	v_mul_f32_dpp v80, v156, v32 row_newbcast:12 row_mask:0xf bank_mask:0xf// 00000000CEA4: 0AA040FA FF015C9C
	v_mul_f32_dpp v81, v156, v33 row_newbcast:13 row_mask:0xf bank_mask:0xf// 00000000CEAC: 0AA242FA FF015D9C
	v_mul_f32_dpp v82, v156, v34 row_newbcast:14 row_mask:0xf bank_mask:0xf// 00000000CEB4: 0AA444FA FF015E9C
	v_mul_f32_dpp v83, v156, v35 row_newbcast:15 row_mask:0xf bank_mask:0xf// 00000000CEBC: 0AA646FA FF015F9C
	v_mul_f32_dpp v84, v166, v36 quad_perm:[0,0,0,0] row_mask:0xf bank_mask:0xf// 00000000CEC4: 0AA848FA FF0000A6
	v_mul_f32_dpp v85, v166, v37 quad_perm:[1,1,1,1] row_mask:0xf bank_mask:0xf// 00000000CECC: 0AAA4AFA FF0055A6
	v_mul_f32_dpp v86, v166, v38 quad_perm:[2,2,2,2] row_mask:0xf bank_mask:0xf// 00000000CED4: 0AAC4CFA FF00AAA6
	v_mul_f32_dpp v87, v166, v39 quad_perm:[3,3,3,3] row_mask:0xf bank_mask:0xf// 00000000CEDC: 0AAE4EFA FF00FFA6
	v_mul_f32_dpp v88, v167, v40 quad_perm:[0,0,0,0] row_mask:0xf bank_mask:0xf// 00000000CEE4: 0AB050FA FF0000A7
	v_mul_f32_dpp v89, v167, v41 quad_perm:[1,1,1,1] row_mask:0xf bank_mask:0xf// 00000000CEEC: 0AB252FA FF0055A7
	v_mul_f32_dpp v90, v167, v42 quad_perm:[2,2,2,2] row_mask:0xf bank_mask:0xf// 00000000CEF4: 0AB454FA FF00AAA7
	v_mul_f32_dpp v91, v167, v43 quad_perm:[3,3,3,3] row_mask:0xf bank_mask:0xf// 00000000CEFC: 0AB656FA FF00FFA7
	v_add_u32_e32 v168, s64, v222                              // 00000000CF04: 6951BC40
	v_add_u32_e32 v169, 0, v168                                // 00000000CF08: 69535080
	v_cmp_lt_u32_e32 vcc, v169, v219                           // 00000000CF0C: 7D93B7A9
	s_nop 0                                                    // 00000000CF10: BF800000
	v_cndmask_b32_e32 v52, 0, v52, vcc                         // 00000000CF14: 00686880
	v_add_u32_e32 v169, 1, v168                                // 00000000CF18: 69535081
	v_cmp_lt_u32_e32 vcc, v169, v219                           // 00000000CF1C: 7D93B7A9
	s_nop 0                                                    // 00000000CF20: BF800000
	v_cndmask_b32_e32 v53, 0, v53, vcc                         // 00000000CF24: 006A6A80
	v_add_u32_e32 v169, 2, v168                                // 00000000CF28: 69535082
	v_cmp_lt_u32_e32 vcc, v169, v219                           // 00000000CF2C: 7D93B7A9
	s_nop 0                                                    // 00000000CF30: BF800000
	v_cndmask_b32_e32 v54, 0, v54, vcc                         // 00000000CF34: 006C6C80
	v_add_u32_e32 v169, 3, v168                                // 00000000CF38: 69535083
	v_cmp_lt_u32_e32 vcc, v169, v219                           // 00000000CF3C: 7D93B7A9
	s_nop 0                                                    // 00000000CF40: BF800000
	v_cndmask_b32_e32 v55, 0, v55, vcc                         // 00000000CF44: 006E6E80
	v_add_u32_e32 v169, 64, v168                               // 00000000CF48: 695350C0
	v_cmp_lt_u32_e32 vcc, v169, v219                           // 00000000CF4C: 7D93B7A9
	s_nop 0                                                    // 00000000CF50: BF800000
	v_cndmask_b32_e32 v56, 0, v56, vcc                         // 00000000CF54: 00707080
	v_add_u32_e32 v169, 0x41, v168                             // 00000000CF58: 695350FF 00000041
	v_cmp_lt_u32_e32 vcc, v169, v219                           // 00000000CF60: 7D93B7A9
	s_nop 0                                                    // 00000000CF64: BF800000
	v_cndmask_b32_e32 v57, 0, v57, vcc                         // 00000000CF68: 00727280
	v_add_u32_e32 v169, 0x42, v168                             // 00000000CF6C: 695350FF 00000042
	v_cmp_lt_u32_e32 vcc, v169, v219                           // 00000000CF74: 7D93B7A9
	s_nop 0                                                    // 00000000CF78: BF800000
	v_cndmask_b32_e32 v58, 0, v58, vcc                         // 00000000CF7C: 00747480
	v_add_u32_e32 v169, 0x43, v168                             // 00000000CF80: 695350FF 00000043
	v_cmp_lt_u32_e32 vcc, v169, v219                           // 00000000CF88: 7D93B7A9
	s_nop 0                                                    // 00000000CF8C: BF800000
	v_cndmask_b32_e32 v59, 0, v59, vcc                         // 00000000CF90: 00767680
	v_add_u32_e32 v169, 0x80, v168                             // 00000000CF94: 695350FF 00000080
	v_cmp_lt_u32_e32 vcc, v169, v219                           // 00000000CF9C: 7D93B7A9
	s_nop 0                                                    // 00000000CFA0: BF800000
	v_cndmask_b32_e32 v60, 0, v60, vcc                         // 00000000CFA4: 00787880
	v_add_u32_e32 v169, 0x81, v168                             // 00000000CFA8: 695350FF 00000081
	v_cmp_lt_u32_e32 vcc, v169, v219                           // 00000000CFB0: 7D93B7A9
	s_nop 0                                                    // 00000000CFB4: BF800000
	v_cndmask_b32_e32 v61, 0, v61, vcc                         // 00000000CFB8: 007A7A80
	v_add_u32_e32 v169, 0x82, v168                             // 00000000CFBC: 695350FF 00000082
	v_cmp_lt_u32_e32 vcc, v169, v219                           // 00000000CFC4: 7D93B7A9
	s_nop 0                                                    // 00000000CFC8: BF800000
	v_cndmask_b32_e32 v62, 0, v62, vcc                         // 00000000CFCC: 007C7C80
	v_add_u32_e32 v169, 0x83, v168                             // 00000000CFD0: 695350FF 00000083
	v_cmp_lt_u32_e32 vcc, v169, v219                           // 00000000CFD8: 7D93B7A9
	s_nop 0                                                    // 00000000CFDC: BF800000
	v_cndmask_b32_e32 v63, 0, v63, vcc                         // 00000000CFE0: 007E7E80
	v_add_u32_e32 v169, 0xc0, v168                             // 00000000CFE4: 695350FF 000000C0
	v_cmp_lt_u32_e32 vcc, v169, v219                           // 00000000CFEC: 7D93B7A9
	s_nop 0                                                    // 00000000CFF0: BF800000
	v_cndmask_b32_e32 v64, 0, v64, vcc                         // 00000000CFF4: 00808080
	v_add_u32_e32 v169, 0xc1, v168                             // 00000000CFF8: 695350FF 000000C1
	v_cmp_lt_u32_e32 vcc, v169, v219                           // 00000000D000: 7D93B7A9
	s_nop 0                                                    // 00000000D004: BF800000
	v_cndmask_b32_e32 v65, 0, v65, vcc                         // 00000000D008: 00828280
	v_add_u32_e32 v169, 0xc2, v168                             // 00000000D00C: 695350FF 000000C2
	v_cmp_lt_u32_e32 vcc, v169, v219                           // 00000000D014: 7D93B7A9
	s_nop 0                                                    // 00000000D018: BF800000
	v_cndmask_b32_e32 v66, 0, v66, vcc                         // 00000000D01C: 00848480
	v_add_u32_e32 v169, 0xc3, v168                             // 00000000D020: 695350FF 000000C3
	v_cmp_lt_u32_e32 vcc, v169, v219                           // 00000000D028: 7D93B7A9
	s_nop 0                                                    // 00000000D02C: BF800000
	v_cndmask_b32_e32 v67, 0, v67, vcc                         // 00000000D030: 00868680
	v_add_u32_e32 v169, 0, v168                                // 00000000D034: 69535080
	v_cmp_lt_u32_e32 vcc, v169, v220                           // 00000000D038: 7D93B9A9
	s_nop 0                                                    // 00000000D03C: BF800000
	v_cndmask_b32_e32 v68, 0, v68, vcc                         // 00000000D040: 00888880
	v_add_u32_e32 v169, 1, v168                                // 00000000D044: 69535081
	v_cmp_lt_u32_e32 vcc, v169, v220                           // 00000000D048: 7D93B9A9
	s_nop 0                                                    // 00000000D04C: BF800000
	v_cndmask_b32_e32 v69, 0, v69, vcc                         // 00000000D050: 008A8A80
	v_add_u32_e32 v169, 2, v168                                // 00000000D054: 69535082
	v_cmp_lt_u32_e32 vcc, v169, v220                           // 00000000D058: 7D93B9A9
	s_nop 0                                                    // 00000000D05C: BF800000
	v_cndmask_b32_e32 v70, 0, v70, vcc                         // 00000000D060: 008C8C80
	v_add_u32_e32 v169, 3, v168                                // 00000000D064: 69535083
	v_cmp_lt_u32_e32 vcc, v169, v220                           // 00000000D068: 7D93B9A9
	s_nop 0                                                    // 00000000D06C: BF800000
	v_cndmask_b32_e32 v71, 0, v71, vcc                         // 00000000D070: 008E8E80
	v_add_u32_e32 v169, 64, v168                               // 00000000D074: 695350C0
	v_cmp_lt_u32_e32 vcc, v169, v220                           // 00000000D078: 7D93B9A9
	s_nop 0                                                    // 00000000D07C: BF800000
	v_cndmask_b32_e32 v72, 0, v72, vcc                         // 00000000D080: 00909080
	v_add_u32_e32 v169, 0x41, v168                             // 00000000D084: 695350FF 00000041
	v_cmp_lt_u32_e32 vcc, v169, v220                           // 00000000D08C: 7D93B9A9
	s_nop 0                                                    // 00000000D090: BF800000
	v_cndmask_b32_e32 v73, 0, v73, vcc                         // 00000000D094: 00929280
	v_add_u32_e32 v169, 0x42, v168                             // 00000000D098: 695350FF 00000042
	v_cmp_lt_u32_e32 vcc, v169, v220                           // 00000000D0A0: 7D93B9A9
	s_nop 0                                                    // 00000000D0A4: BF800000
	v_cndmask_b32_e32 v74, 0, v74, vcc                         // 00000000D0A8: 00949480
	v_add_u32_e32 v169, 0x43, v168                             // 00000000D0AC: 695350FF 00000043
	v_cmp_lt_u32_e32 vcc, v169, v220                           // 00000000D0B4: 7D93B9A9
	s_nop 0                                                    // 00000000D0B8: BF800000
	v_cndmask_b32_e32 v75, 0, v75, vcc                         // 00000000D0BC: 00969680
	v_add_u32_e32 v169, 0x80, v168                             // 00000000D0C0: 695350FF 00000080
	v_cmp_lt_u32_e32 vcc, v169, v220                           // 00000000D0C8: 7D93B9A9
	s_nop 0                                                    // 00000000D0CC: BF800000
	v_cndmask_b32_e32 v76, 0, v76, vcc                         // 00000000D0D0: 00989880
	v_add_u32_e32 v169, 0x81, v168                             // 00000000D0D4: 695350FF 00000081
	v_cmp_lt_u32_e32 vcc, v169, v220                           // 00000000D0DC: 7D93B9A9
	s_nop 0                                                    // 00000000D0E0: BF800000
	v_cndmask_b32_e32 v77, 0, v77, vcc                         // 00000000D0E4: 009A9A80
	v_add_u32_e32 v169, 0x82, v168                             // 00000000D0E8: 695350FF 00000082
	v_cmp_lt_u32_e32 vcc, v169, v220                           // 00000000D0F0: 7D93B9A9
	s_nop 0                                                    // 00000000D0F4: BF800000
	v_cndmask_b32_e32 v78, 0, v78, vcc                         // 00000000D0F8: 009C9C80
	v_add_u32_e32 v169, 0x83, v168                             // 00000000D0FC: 695350FF 00000083
	v_cmp_lt_u32_e32 vcc, v169, v220                           // 00000000D104: 7D93B9A9
	s_nop 0                                                    // 00000000D108: BF800000
	v_cndmask_b32_e32 v79, 0, v79, vcc                         // 00000000D10C: 009E9E80
	v_add_u32_e32 v169, 0xc0, v168                             // 00000000D110: 695350FF 000000C0
	v_cmp_lt_u32_e32 vcc, v169, v220                           // 00000000D118: 7D93B9A9
	s_nop 0                                                    // 00000000D11C: BF800000
	v_cndmask_b32_e32 v80, 0, v80, vcc                         // 00000000D120: 00A0A080
	v_add_u32_e32 v169, 0xc1, v168                             // 00000000D124: 695350FF 000000C1
	v_cmp_lt_u32_e32 vcc, v169, v220                           // 00000000D12C: 7D93B9A9
	s_nop 0                                                    // 00000000D130: BF800000
	v_cndmask_b32_e32 v81, 0, v81, vcc                         // 00000000D134: 00A2A280
	v_add_u32_e32 v169, 0xc2, v168                             // 00000000D138: 695350FF 000000C2
	v_cmp_lt_u32_e32 vcc, v169, v220                           // 00000000D140: 7D93B9A9
	s_nop 0                                                    // 00000000D144: BF800000
	v_cndmask_b32_e32 v82, 0, v82, vcc                         // 00000000D148: 00A4A480
	v_add_u32_e32 v169, 0xc3, v168                             // 00000000D14C: 695350FF 000000C3
	v_cmp_lt_u32_e32 vcc, v169, v220                           // 00000000D154: 7D93B9A9
	s_nop 0                                                    // 00000000D158: BF800000
	v_cndmask_b32_e32 v83, 0, v83, vcc                         // 00000000D15C: 00A6A680
	v_add_u32_e32 v168, s64, v223                              // 00000000D160: 6951BE40
	v_add_u32_e32 v169, 0, v168                                // 00000000D164: 69535080
	v_cmp_lt_u32_e32 vcc, v169, v221                           // 00000000D168: 7D93BBA9
	s_nop 0                                                    // 00000000D16C: BF800000
	v_cndmask_b32_e32 v84, 0, v84, vcc                         // 00000000D170: 00A8A880
	v_add_u32_e32 v169, 1, v168                                // 00000000D174: 69535081
	v_cmp_lt_u32_e32 vcc, v169, v221                           // 00000000D178: 7D93BBA9
	s_nop 0                                                    // 00000000D17C: BF800000
	v_cndmask_b32_e32 v85, 0, v85, vcc                         // 00000000D180: 00AAAA80
	v_add_u32_e32 v169, 2, v168                                // 00000000D184: 69535082
	v_cmp_lt_u32_e32 vcc, v169, v221                           // 00000000D188: 7D93BBA9
	s_nop 0                                                    // 00000000D18C: BF800000
	v_cndmask_b32_e32 v86, 0, v86, vcc                         // 00000000D190: 00ACAC80
	v_add_u32_e32 v169, 3, v168                                // 00000000D194: 69535083
	v_cmp_lt_u32_e32 vcc, v169, v221                           // 00000000D198: 7D93BBA9
	s_nop 0                                                    // 00000000D19C: BF800000
	v_cndmask_b32_e32 v87, 0, v87, vcc                         // 00000000D1A0: 00AEAE80
	v_add_u32_e32 v169, 64, v168                               // 00000000D1A4: 695350C0
	v_cmp_lt_u32_e32 vcc, v169, v221                           // 00000000D1A8: 7D93BBA9
	s_nop 0                                                    // 00000000D1AC: BF800000
	v_cndmask_b32_e32 v88, 0, v88, vcc                         // 00000000D1B0: 00B0B080
	v_add_u32_e32 v169, 0x41, v168                             // 00000000D1B4: 695350FF 00000041
	v_cmp_lt_u32_e32 vcc, v169, v221                           // 00000000D1BC: 7D93BBA9
	s_nop 0                                                    // 00000000D1C0: BF800000
	v_cndmask_b32_e32 v89, 0, v89, vcc                         // 00000000D1C4: 00B2B280
	v_add_u32_e32 v169, 0x42, v168                             // 00000000D1C8: 695350FF 00000042
	v_cmp_lt_u32_e32 vcc, v169, v221                           // 00000000D1D0: 7D93BBA9
	s_nop 0                                                    // 00000000D1D4: BF800000
	v_cndmask_b32_e32 v90, 0, v90, vcc                         // 00000000D1D8: 00B4B480
	v_add_u32_e32 v169, 0x43, v168                             // 00000000D1DC: 695350FF 00000043
	v_cmp_lt_u32_e32 vcc, v169, v221                           // 00000000D1E4: 7D93BBA9
	s_nop 0                                                    // 00000000D1E8: BF800000
	v_cndmask_b32_e32 v91, 0, v91, vcc                         // 00000000D1EC: 00B6B680
	v_mov_b32_e32 v190, 0x358637bd                             // 00000000D1F0: 7F7C02FF 358637BD
	v_max3_f32 v190, |v84|, |v85|, v190                        // 00000000D1F8: D1D303BE 06FAAB54
	v_max3_f32 v190, |v86|, |v87|, v190                        // 00000000D200: D1D303BE 06FAAF56
	v_max3_f32 v190, |v88|, |v89|, v190                        // 00000000D208: D1D303BE 06FAB358
	v_max3_f32 v190, |v90|, |v91|, v190                        // 00000000D210: D1D303BE 06FAB75A
	v_mov_b32_e32 v189, 0x358637bd                             // 00000000D218: 7F7A02FF 358637BD
	v_max3_f32 v189, |v68|, |v69|, v189                        // 00000000D220: D1D303BD 06F68B44
	v_max3_f32 v189, |v70|, |v71|, v189                        // 00000000D228: D1D303BD 06F68F46
	v_max3_f32 v189, |v72|, |v73|, v189                        // 00000000D230: D1D303BD 06F69348
	v_max3_f32 v189, |v74|, |v75|, v189                        // 00000000D238: D1D303BD 06F6974A
	v_max3_f32 v189, |v76|, |v77|, v189                        // 00000000D240: D1D303BD 06F69B4C
	v_max3_f32 v189, |v78|, |v79|, v189                        // 00000000D248: D1D303BD 06F69F4E
	v_max3_f32 v189, |v80|, |v81|, v189                        // 00000000D250: D1D303BD 06F6A350
	v_max3_f32 v189, |v82|, |v83|, v189                        // 00000000D258: D1D303BD 06F6A752
	v_mov_b32_e32 v188, 0x358637bd                             // 00000000D260: 7F7802FF 358637BD
	v_max3_f32 v188, |v52|, |v53|, v188                        // 00000000D268: D1D303BC 06F26B34
	v_max3_f32 v188, |v54|, |v55|, v188                        // 00000000D270: D1D303BC 06F26F36
	v_max3_f32 v188, |v56|, |v57|, v188                        // 00000000D278: D1D303BC 06F27338
	v_max3_f32 v188, |v58|, |v59|, v188                        // 00000000D280: D1D303BC 06F2773A
	v_max3_f32 v188, |v60|, |v61|, v188                        // 00000000D288: D1D303BC 06F27B3C
	v_max3_f32 v188, |v62|, |v63|, v188                        // 00000000D290: D1D303BC 06F27F3E
	v_max3_f32 v188, |v64|, |v65|, v188                        // 00000000D298: D1D303BC 06F28340
	v_max3_f32 v188, |v66|, |v67|, v188                        // 00000000D2A0: D1D303BC 06F28742
	v_max_f32_dpp v190, v190, v190 row_ror:8 row_mask:0xf bank_mask:0xf// 00000000D2A8: 177D7CFA FF0128BE
	ds_bpermute_b32 v172, v212, v188                           // 00000000D2B0: D87E0000 AC00BCD4
	ds_bpermute_b32 v173, v213, v188                           // 00000000D2B8: D87E0000 AD00BCD5
	ds_bpermute_b32 v174, v214, v188                           // 00000000D2C0: D87E0000 AE00BCD6
	ds_bpermute_b32 v175, v212, v189                           // 00000000D2C8: D87E0000 AF00BDD4
	ds_bpermute_b32 v176, v213, v189                           // 00000000D2D0: D87E0000 B000BDD5
	ds_bpermute_b32 v177, v214, v189                           // 00000000D2D8: D87E0000 B100BDD6
	ds_bpermute_b32 v178, v212, v190                           // 00000000D2E0: D87E0000 B200BED4
	ds_bpermute_b32 v179, v213, v190                           // 00000000D2E8: D87E0000 B300BED5
	ds_bpermute_b32 v180, v214, v190                           // 00000000D2F0: D87E0000 B400BED6
	s_waitcnt lgkmcnt(6)                                       // 00000000D2F8: BF8CC67F
	v_max3_f32 v188, v172, v173, v188                          // 00000000D2FC: D1D300BC 06F35BAC
	v_max_f32_e32 v188, v174, v188                             // 00000000D304: 177979AE
	s_waitcnt lgkmcnt(3)                                       // 00000000D308: BF8CC37F
	v_max3_f32 v189, v175, v176, v189                          // 00000000D30C: D1D300BD 06F761AF
	v_max_f32_e32 v189, v177, v189                             // 00000000D314: 177B7BB1
	s_waitcnt lgkmcnt(0)                                       // 00000000D318: BF8CC07F
	v_max3_f32 v190, v178, v179, v190                          // 00000000D31C: D1D300BE 06FB67B2
	v_max_f32_e32 v190, v180, v190                             // 00000000D324: 177D7DB4
	ds_write_b128 v252, v[188:191] offset:4096                 // 00000000D328: D9BE1000 0000BCFC
	buffer_load_dword v155, v238, s[20:23], 0 offen            // 00000000D330: E0501000 80059BEE
	v_sub_f32_e32 v200, v194, v197                             // 00000000D338: 05918BC2
	v_cmp_eq_u32_e64 s[98:99], v225, v194                      // 00000000D33C: D0CA0062 000385E1
	v_cndmask_b32_e64 v200, v200, 0, s[98:99]                  // 00000000D344: D10000C8 018901C8
	v_mov_b32_e32 v194, v197                                   // 00000000D34C: 7F8403C5
	v_mul_f32_e32 v200, s46, v200                              // 00000000D350: 0B91902E
	v_exp_f32_e32 v200, v200                                   // 00000000D354: 7F9041C8
	v_sub_f32_e32 v202, v195, v198                             // 00000000D358: 05958DC3
	v_cmp_eq_u32_e64 s[98:99], v225, v195                      // 00000000D35C: D0CA0062 000387E1
	v_cndmask_b32_e64 v202, v202, 0, s[98:99]                  // 00000000D364: D10000CA 018901CA
	v_mov_b32_e32 v195, v198                                   // 00000000D36C: 7F8603C6
	v_mul_f32_e32 v202, s46, v202                              // 00000000D370: 0B95942E
	v_exp_f32_e32 v202, v202                                   // 00000000D374: 7F9441CA
	v_sub_f32_e32 v204, v196, v199                             // 00000000D378: 05998FC4
	v_cmp_eq_u32_e64 s[98:99], v225, v196                      // 00000000D37C: D0CA0062 000389E1
	v_cndmask_b32_e64 v204, v204, 0, s[98:99]                  // 00000000D384: D10000CC 018901CC
	v_mov_b32_e32 v196, v199                                   // 00000000D38C: 7F8803C7
	v_mul_f32_e32 v204, s46, v204                              // 00000000D390: 0B99982E
	v_exp_f32_e32 v204, v204                                   // 00000000D394: 7F9841CC
	v_mov_b32_e32 v201, v200                                   // 00000000D398: 7F9203C8
	v_mov_b32_e32 v203, v202                                   // 00000000D39C: 7F9603CA
	v_mov_b32_e32 v205, v204                                   // 00000000D3A0: 7F9A03CC
	s_waitcnt lgkmcnt(0)                                       // 00000000D3A4: BF8CC07F
	s_barrier                                                  // 00000000D3A8: BF8A0000
	ds_read_b128 v[172:175], v253 offset:4096                  // 00000000D3AC: D9FE1000 AC0000FD
	ds_read_b128 v[176:179], v253 offset:4352                  // 00000000D3B4: D9FE1100 B00000FD
	ds_read_b128 v[180:183], v253 offset:4608                  // 00000000D3BC: D9FE1200 B40000FD
	ds_read_b128 v[184:187], v253 offset:4864                  // 00000000D3C4: D9FE1300 B80000FD
	buffer_load_dword v157, v239, s[24:27], 0 offen            // 00000000D3CC: E0501000 80069DEF
	v_mul_f32_e32 v206, v200, v206                             // 00000000D3D4: 0B9D9DC8
	v_mov_b32_e32 v207, 0                                      // 00000000D3D8: 7F9E0280
	v_pk_add_f32 v[206:207], v[4:5], v[206:207]                // 00000000D3DC: D3B240CE 18039D04
	v_pk_add_f32 v[206:207], v[6:7], v[206:207]                // 00000000D3E4: D3B240CE 18039D06
	v_pk_add_f32 v[206:207], v[8:9], v[206:207]                // 00000000D3EC: D3B240CE 18039D08
	v_pk_add_f32 v[206:207], v[10:11], v[206:207]              // 00000000D3F4: D3B240CE 18039D0A
	v_pk_add_f32 v[206:207], v[12:13], v[206:207]              // 00000000D3FC: D3B240CE 18039D0C
	v_pk_add_f32 v[206:207], v[14:15], v[206:207]              // 00000000D404: D3B240CE 18039D0E
	v_pk_add_f32 v[206:207], v[16:17], v[206:207]              // 00000000D40C: D3B240CE 18039D10
	v_pk_add_f32 v[206:207], v[18:19], v[206:207]              // 00000000D414: D3B240CE 18039D12
	v_add_f32_e32 v206, v207, v206                             // 00000000D41C: 039D9DCF
	v_mul_f32_e32 v208, v202, v208                             // 00000000D420: 0BA1A1CA
	v_mov_b32_e32 v209, 0                                      // 00000000D424: 7FA20280
	v_pk_add_f32 v[208:209], v[20:21], v[208:209]              // 00000000D428: D3B240D0 1803A114
	v_pk_add_f32 v[208:209], v[22:23], v[208:209]              // 00000000D430: D3B240D0 1803A116
	v_pk_add_f32 v[208:209], v[24:25], v[208:209]              // 00000000D438: D3B240D0 1803A118
	v_pk_add_f32 v[208:209], v[26:27], v[208:209]              // 00000000D440: D3B240D0 1803A11A
	v_pk_add_f32 v[208:209], v[28:29], v[208:209]              // 00000000D448: D3B240D0 1803A11C
	v_pk_add_f32 v[208:209], v[30:31], v[208:209]              // 00000000D450: D3B240D0 1803A11E
	v_pk_add_f32 v[208:209], v[32:33], v[208:209]              // 00000000D458: D3B240D0 1803A120
	v_pk_add_f32 v[208:209], v[34:35], v[208:209]              // 00000000D460: D3B240D0 1803A122
	v_add_f32_e32 v208, v209, v208                             // 00000000D468: 03A1A1D1
	v_mul_f32_e32 v210, v204, v210                             // 00000000D46C: 0BA5A5CC
	v_mov_b32_e32 v211, 0                                      // 00000000D470: 7FA60280
	v_pk_add_f32 v[210:211], v[36:37], v[210:211]              // 00000000D474: D3B240D2 1803A524
	v_pk_add_f32 v[210:211], v[38:39], v[210:211]              // 00000000D47C: D3B240D2 1803A526
	v_pk_add_f32 v[210:211], v[40:41], v[210:211]              // 00000000D484: D3B240D2 1803A528
	v_pk_add_f32 v[210:211], v[42:43], v[210:211]              // 00000000D48C: D3B240D2 1803A52A
	v_add_f32_e32 v210, v211, v210                             // 00000000D494: 03A5A5D3
	s_waitcnt lgkmcnt(0)                                       // 00000000D498: BF8CC07F
	v_max3_f32 v188, v172, v176, v188                          // 00000000D49C: D1D300BC 06F361AC
	v_max3_f32 v189, v173, v177, v189                          // 00000000D4A4: D1D300BD 06F763AD
	v_max3_f32 v190, v174, v178, v190                          // 00000000D4AC: D1D300BE 06FB65AE
	v_max3_f32 v188, v180, v184, v188                          // 00000000D4B4: D1D300BC 06F371B4
	v_max3_f32 v189, v181, v185, v189                          // 00000000D4BC: D1D300BD 06F773B5
	v_max3_f32 v190, v182, v186, v190                          // 00000000D4C4: D1D300BE 06FB75B6
	v_rcp_f32_e32 v188, v188                                   // 00000000D4CC: 7F7845BC
	v_rcp_f32_e32 v189, v189                                   // 00000000D4D0: 7F7A45BD
	v_rcp_f32_e32 v190, v190                                   // 00000000D4D4: 7F7C45BE
	v_mul_f32_e32 v188, 0x43700000, v188                       // 00000000D4D8: 0B7978FF 43700000
	v_mul_f32_e32 v189, 0x43700000, v189                       // 00000000D4E0: 0B7B7AFF 43700000
	v_mul_f32_e32 v190, 0x43700000, v190                       // 00000000D4E8: 0B7D7CFF 43700000
	v_mov_b32_e32 v192, v190                                   // 00000000D4F0: 7F8003BE
	v_mov_b32_e32 v193, v190                                   // 00000000D4F4: 7F8203BE
	v_mov_b32_e32 v190, v189                                   // 00000000D4F8: 7F7C03BD
	v_mov_b32_e32 v191, v189                                   // 00000000D4FC: 7F7E03BD
	v_mov_b32_e32 v189, v188                                   // 00000000D500: 7F7A03BC
	v_pk_mul_f32 v[4:5], v[188:189], v[52:53]                  // 00000000D504: D3B14004 180269BC
	v_pk_mul_f32 v[6:7], v[188:189], v[54:55]                  // 00000000D50C: D3B14006 18026DBC
	v_pk_mul_f32 v[8:9], v[188:189], v[56:57]                  // 00000000D514: D3B14008 180271BC
	v_pk_mul_f32 v[10:11], v[188:189], v[58:59]                // 00000000D51C: D3B1400A 180275BC
	v_pk_mul_f32 v[12:13], v[188:189], v[60:61]                // 00000000D524: D3B1400C 180279BC
	v_pk_mul_f32 v[14:15], v[188:189], v[62:63]                // 00000000D52C: D3B1400E 18027DBC
	v_pk_mul_f32 v[16:17], v[188:189], v[64:65]                // 00000000D534: D3B14010 180281BC
	v_pk_mul_f32 v[18:19], v[188:189], v[66:67]                // 00000000D53C: D3B14012 180285BC
	v_pk_mul_f32 v[20:21], v[190:191], v[68:69]                // 00000000D544: D3B14014 180289BE
	v_pk_mul_f32 v[22:23], v[190:191], v[70:71]                // 00000000D54C: D3B14016 18028DBE
	v_pk_mul_f32 v[24:25], v[190:191], v[72:73]                // 00000000D554: D3B14018 180291BE
	v_pk_mul_f32 v[26:27], v[190:191], v[74:75]                // 00000000D55C: D3B1401A 180295BE
	v_pk_mul_f32 v[28:29], v[190:191], v[76:77]                // 00000000D564: D3B1401C 180299BE
	v_pk_mul_f32 v[30:31], v[190:191], v[78:79]                // 00000000D56C: D3B1401E 18029DBE
	v_pk_mul_f32 v[32:33], v[190:191], v[80:81]                // 00000000D574: D3B14020 1802A1BE
	v_pk_mul_f32 v[34:35], v[190:191], v[82:83]                // 00000000D57C: D3B14022 1802A5BE
	v_pk_mul_f32 v[36:37], v[192:193], v[84:85]                // 00000000D584: D3B14024 1802A9C0
	v_pk_mul_f32 v[38:39], v[192:193], v[86:87]                // 00000000D58C: D3B14026 1802ADC0
	v_pk_mul_f32 v[40:41], v[192:193], v[88:89]                // 00000000D594: D3B14028 1802B1C0
	v_pk_mul_f32 v[42:43], v[192:193], v[90:91]                // 00000000D59C: D3B1402A 1802B5C0
	v_cvt_pk_fp8_f32 v4, v4, v5                                // 00000000D5A4: D2A20004 00020B04
	v_cvt_pk_fp8_f32 v4, v6, v7 op_sel:[0,0,1]                 // 00000000D5AC: D2A24004 00020F06
	v_cvt_pk_fp8_f32 v5, v8, v9                                // 00000000D5B4: D2A20005 00021308
	v_cvt_pk_fp8_f32 v5, v10, v11 op_sel:[0,0,1]               // 00000000D5BC: D2A24005 0002170A
	v_cvt_pk_fp8_f32 v6, v12, v13                              // 00000000D5C4: D2A20006 00021B0C
	v_cvt_pk_fp8_f32 v6, v14, v15 op_sel:[0,0,1]               // 00000000D5CC: D2A24006 00021F0E
	v_cvt_pk_fp8_f32 v7, v16, v17                              // 00000000D5D4: D2A20007 00022310
	v_cvt_pk_fp8_f32 v7, v18, v19 op_sel:[0,0,1]               // 00000000D5DC: D2A24007 00022712
	v_cvt_pk_fp8_f32 v8, v20, v21                              // 00000000D5E4: D2A20008 00022B14
	v_cvt_pk_fp8_f32 v8, v22, v23 op_sel:[0,0,1]               // 00000000D5EC: D2A24008 00022F16
	v_cvt_pk_fp8_f32 v9, v24, v25                              // 00000000D5F4: D2A20009 00023318
	v_cvt_pk_fp8_f32 v9, v26, v27 op_sel:[0,0,1]               // 00000000D5FC: D2A24009 0002371A
	v_cvt_pk_fp8_f32 v10, v28, v29                             // 00000000D604: D2A2000A 00023B1C
	v_cvt_pk_fp8_f32 v10, v30, v31 op_sel:[0,0,1]              // 00000000D60C: D2A2400A 00023F1E
	v_cvt_pk_fp8_f32 v11, v32, v33                             // 00000000D614: D2A2000B 00024320
	v_cvt_pk_fp8_f32 v11, v34, v35 op_sel:[0,0,1]              // 00000000D61C: D2A2400B 00024722
	v_cvt_pk_fp8_f32 v12, v36, v37                             // 00000000D624: D2A2000C 00024B24
	v_cvt_pk_fp8_f32 v12, v38, v39 op_sel:[0,0,1]              // 00000000D62C: D2A2400C 00024F26
	v_cvt_pk_fp8_f32 v13, v40, v41                             // 00000000D634: D2A2000D 00025328
	v_cvt_pk_fp8_f32 v13, v42, v43 op_sel:[0,0,1]              // 00000000D63C: D2A2400D 0002572A
	v_mov_b32_dpp v14, v12 row_shl:8 row_mask:0xf bank_mask:0xf bound_ctrl:1// 00000000D644: 7E1C02FA FF09080C
	v_and_b32_e32 v12, v12, v224                               // 00000000D64C: 2619C10C
	v_mov_b32_dpp v15, v13 row_shl:8 row_mask:0xf bank_mask:0xf bound_ctrl:1// 00000000D650: 7E1E02FA FF09080D
	v_and_b32_e32 v13, v13, v224                               // 00000000D658: 261BC10D
	ds_write_b32 v254, v4 offset:8192                          // 00000000D65C: D81A2000 000004FE
	ds_write_b32 v254, v5 offset:9216                          // 00000000D664: D81A2400 000005FE
	ds_write_b32 v254, v6 offset:10240                         // 00000000D66C: D81A2800 000006FE
	ds_write_b32 v254, v7 offset:11264                         // 00000000D674: D81A2C00 000007FE
	ds_write_b32 v254, v8 offset:12288                         // 00000000D67C: D81A3000 000008FE
	ds_write_b32 v254, v9 offset:13312                         // 00000000D684: D81A3400 000009FE
	ds_write_b32 v254, v10 offset:14336                        // 00000000D68C: D81A3800 00000AFE
	ds_write_b32 v254, v11 offset:15360                        // 00000000D694: D81A3C00 00000BFE
	ds_write_b32 v254, v12 offset:16384                        // 00000000D69C: D81A4000 00000CFE
	ds_write_b32 v254, v13 offset:17408                        // 00000000D6A4: D81A4400 00000DFE
	ds_write_b32 v254, v14 offset:18432                        // 00000000D6AC: D81A4800 00000EFE
	ds_write_b32 v254, v15 offset:19456                        // 00000000D6B4: D81A4C00 00000FFE
	v_rcp_f32_e32 v158, v188                                   // 00000000D6BC: 7F3C45BC
	v_rcp_f32_e32 v160, v190                                   // 00000000D6C0: 7F4045BE
	v_rcp_f32_e32 v162, v192                                   // 00000000D6C4: 7F4445C0
	v_mov_b32_e32 v159, v158                                   // 00000000D6C8: 7F3E039E
	v_mov_b32_e32 v161, v160                                   // 00000000D6CC: 7F4203A0
	v_mov_b32_e32 v163, v162                                   // 00000000D6D0: 7F4603A2
	v_pk_add_f32 v[124:125], v[124:125], v[100:101]            // 00000000D6D4: D3B2407C 1802C97C
	v_pk_add_f32 v[126:127], v[126:127], v[102:103]            // 00000000D6DC: D3B2407E 1802CD7E
	v_pk_add_f32 v[128:129], v[128:129], v[104:105]            // 00000000D6E4: D3B24080 1802D180
	v_pk_add_f32 v[130:131], v[130:131], v[106:107]            // 00000000D6EC: D3B24082 1802D582
	v_pk_add_f32 v[132:133], v[132:133], v[108:109]            // 00000000D6F4: D3B24084 1802D984
	v_pk_add_f32 v[134:135], v[134:135], v[110:111]            // 00000000D6FC: D3B24086 1802DD86
	v_pk_add_f32 v[136:137], v[136:137], v[112:113]            // 00000000D704: D3B24088 1802E188
	v_pk_add_f32 v[138:139], v[138:139], v[114:115]            // 00000000D70C: D3B2408A 1802E58A
	v_pk_add_f32 v[140:141], v[140:141], v[116:117]            // 00000000D714: D3B2408C 1802E98C
	v_pk_add_f32 v[142:143], v[142:143], v[118:119]            // 00000000D71C: D3B2408E 1802ED8E
	v_pk_add_f32 v[144:145], v[144:145], v[120:121]            // 00000000D724: D3B24090 1802F190
	v_pk_add_f32 v[146:147], v[146:147], v[122:123]            // 00000000D72C: D3B24092 1802F592
	s_waitcnt lgkmcnt(0)                                       // 00000000D734: BF8CC07F
	s_barrier                                                  // 00000000D738: BF8A0000
	ds_read_b128 v[4:7], v255 offset:8192                      // 00000000D73C: D9FE2000 040000FF
	ds_read_b128 v[8:11], v255 offset:9216                     // 00000000D744: D9FE2400 080000FF
	ds_read_b128 v[12:15], v255 offset:10240                   // 00000000D74C: D9FE2800 0C0000FF
	ds_read_b128 v[16:19], v255 offset:11264                   // 00000000D754: D9FE2C00 100000FF
	ds_read_b128 v[20:23], v255 offset:12288                   // 00000000D75C: D9FE3000 140000FF
	ds_read_b128 v[24:27], v255 offset:13312                   // 00000000D764: D9FE3400 180000FF
	ds_read_b128 v[28:31], v255 offset:14336                   // 00000000D76C: D9FE3800 1C0000FF
	ds_read_b128 v[32:35], v255 offset:15360                   // 00000000D774: D9FE3C00 200000FF
	ds_read_b128 v[36:39], v255 offset:16384                   // 00000000D77C: D9FE4000 240000FF
	ds_read_b128 v[40:43], v255 offset:17408                   // 00000000D784: D9FE4400 280000FF
	ds_read_b128 v[44:47], v255 offset:18432                   // 00000000D78C: D9FE4800 2C0000FF
	ds_read_b128 v[48:51], v255 offset:19456                   // 00000000D794: D9FE4C00 300000FF
	s_waitcnt vmcnt(10)                                        // 00000000D79C: BF8C0F7A
	v_lshrrev_b32_e32 v1, 4, v0                                // 00000000D7A0: 20020084
	v_lshlrev_b32_e32 v1, 4, v1                                // 00000000D7A4: 24020284
	v_add_u32_e32 v168, s64, v1                                // 00000000D7A8: 69500240
	v_add_u32_e32 v168, 4, v168                                // 00000000D7AC: 69515084
	v_sub_i32 v168, v168, s62                                  // 00000000D7B0: D29D00A8 00007DA8
	s_mov_b32 s54, 0                                           // 00000000D7B8: BEB60080
	v_add_i32 v169, s54, v168                                  // 00000000D7BC: D29C00A9 00035036
	v_cmp_lt_i32_e64 vcc, v169, 4                              // 00000000D7C4: D0C1006A 000109A9
	v_min_u32_e32 v169, 4, v169                                // 00000000D7CC: 1D535284
	v_lshlrev_b32_e32 v169, 3, v169                            // 00000000D7D0: 25535283
	v_lshrrev_b32_e64 v170, v169, -1                           // 00000000D7D4: D11000AA 000183A9
	v_accvgpr_read_b32 v171, a88                               // 00000000D7DC: D3D840AB 18000158
	v_cndmask_b32_e32 v171, 0, v171, vcc                       // 00000000D7E4: 01575680
	v_and_b32_e32 v171, v171, v170                             // 00000000D7E8: 275755AB
	v_accvgpr_write_b32 a88, v171                              // 00000000D7EC: D3D94058 180001AB
	v_accvgpr_read_b32 v171, a104                              // 00000000D7F4: D3D840AB 18000168
	v_cndmask_b32_e32 v171, 0, v171, vcc                       // 00000000D7FC: 01575680
	v_and_b32_e32 v171, v171, v170                             // 00000000D800: 275755AB
	v_accvgpr_write_b32 a104, v171                             // 00000000D804: D3D94068 180001AB
	s_mov_b32 s54, 4                                           // 00000000D80C: BEB60084
	v_add_i32 v169, s54, v168                                  // 00000000D810: D29C00A9 00035036
	v_cmp_lt_i32_e64 vcc, v169, 4                              // 00000000D818: D0C1006A 000109A9
	v_min_u32_e32 v169, 4, v169                                // 00000000D820: 1D535284
	v_lshlrev_b32_e32 v169, 3, v169                            // 00000000D824: 25535283
	v_lshrrev_b32_e64 v170, v169, -1                           // 00000000D828: D11000AA 000183A9
	v_accvgpr_read_b32 v171, a89                               // 00000000D830: D3D840AB 18000159
	v_cndmask_b32_e32 v171, 0, v171, vcc                       // 00000000D838: 01575680
	v_and_b32_e32 v171, v171, v170                             // 00000000D83C: 275755AB
	v_accvgpr_write_b32 a89, v171                              // 00000000D840: D3D94059 180001AB
	v_accvgpr_read_b32 v171, a105                              // 00000000D848: D3D840AB 18000169
	v_cndmask_b32_e32 v171, 0, v171, vcc                       // 00000000D850: 01575680
	v_and_b32_e32 v171, v171, v170                             // 00000000D854: 275755AB
	v_accvgpr_write_b32 a105, v171                             // 00000000D858: D3D94069 180001AB
	s_mov_b32 s54, 8                                           // 00000000D860: BEB60088
	v_add_i32 v169, s54, v168                                  // 00000000D864: D29C00A9 00035036
	v_cmp_lt_i32_e64 vcc, v169, 4                              // 00000000D86C: D0C1006A 000109A9
	v_min_u32_e32 v169, 4, v169                                // 00000000D874: 1D535284
	v_lshlrev_b32_e32 v169, 3, v169                            // 00000000D878: 25535283
	v_lshrrev_b32_e64 v170, v169, -1                           // 00000000D87C: D11000AA 000183A9
	v_accvgpr_read_b32 v171, a90                               // 00000000D884: D3D840AB 1800015A
	v_cndmask_b32_e32 v171, 0, v171, vcc                       // 00000000D88C: 01575680
	v_and_b32_e32 v171, v171, v170                             // 00000000D890: 275755AB
	v_accvgpr_write_b32 a90, v171                              // 00000000D894: D3D9405A 180001AB
	v_accvgpr_read_b32 v171, a106                              // 00000000D89C: D3D840AB 1800016A
	v_cndmask_b32_e32 v171, 0, v171, vcc                       // 00000000D8A4: 01575680
	v_and_b32_e32 v171, v171, v170                             // 00000000D8A8: 275755AB
	v_accvgpr_write_b32 a106, v171                             // 00000000D8AC: D3D9406A 180001AB
	s_mov_b32 s54, 12                                          // 00000000D8B4: BEB6008C
	v_add_i32 v169, s54, v168                                  // 00000000D8B8: D29C00A9 00035036
	v_cmp_lt_i32_e64 vcc, v169, 4                              // 00000000D8C0: D0C1006A 000109A9
	v_min_u32_e32 v169, 4, v169                                // 00000000D8C8: 1D535284
	v_lshlrev_b32_e32 v169, 3, v169                            // 00000000D8CC: 25535283
	v_lshrrev_b32_e64 v170, v169, -1                           // 00000000D8D0: D11000AA 000183A9
	v_accvgpr_read_b32 v171, a91                               // 00000000D8D8: D3D840AB 1800015B
	v_cndmask_b32_e32 v171, 0, v171, vcc                       // 00000000D8E0: 01575680
	v_and_b32_e32 v171, v171, v170                             // 00000000D8E4: 275755AB
	v_accvgpr_write_b32 a91, v171                              // 00000000D8E8: D3D9405B 180001AB
	v_accvgpr_read_b32 v171, a107                              // 00000000D8F0: D3D840AB 1800016B
	v_cndmask_b32_e32 v171, 0, v171, vcc                       // 00000000D8F8: 01575680
	v_and_b32_e32 v171, v171, v170                             // 00000000D8FC: 275755AB
	v_accvgpr_write_b32 a107, v171                             // 00000000D900: D3D9406B 180001AB
	s_mov_b32 s54, 64                                          // 00000000D908: BEB600C0
	v_add_i32 v169, s54, v168                                  // 00000000D90C: D29C00A9 00035036
	v_cmp_lt_i32_e64 vcc, v169, 4                              // 00000000D914: D0C1006A 000109A9
	v_min_u32_e32 v169, 4, v169                                // 00000000D91C: 1D535284
	v_lshlrev_b32_e32 v169, 3, v169                            // 00000000D920: 25535283
	v_lshrrev_b32_e64 v170, v169, -1                           // 00000000D924: D11000AA 000183A9
	v_accvgpr_read_b32 v171, a92                               // 00000000D92C: D3D840AB 1800015C
	v_cndmask_b32_e32 v171, 0, v171, vcc                       // 00000000D934: 01575680
	v_and_b32_e32 v171, v171, v170                             // 00000000D938: 275755AB
	v_accvgpr_write_b32 a92, v171                              // 00000000D93C: D3D9405C 180001AB
	v_accvgpr_read_b32 v171, a108                              // 00000000D944: D3D840AB 1800016C
	v_cndmask_b32_e32 v171, 0, v171, vcc                       // 00000000D94C: 01575680
	v_and_b32_e32 v171, v171, v170                             // 00000000D950: 275755AB
	v_accvgpr_write_b32 a108, v171                             // 00000000D954: D3D9406C 180001AB
	s_mov_b32 s54, 0x44                                        // 00000000D95C: BEB600FF 00000044
	v_add_i32 v169, s54, v168                                  // 00000000D964: D29C00A9 00035036
	v_cmp_lt_i32_e64 vcc, v169, 4                              // 00000000D96C: D0C1006A 000109A9
	v_min_u32_e32 v169, 4, v169                                // 00000000D974: 1D535284
	v_lshlrev_b32_e32 v169, 3, v169                            // 00000000D978: 25535283
	v_lshrrev_b32_e64 v170, v169, -1                           // 00000000D97C: D11000AA 000183A9
	v_accvgpr_read_b32 v171, a93                               // 00000000D984: D3D840AB 1800015D
	v_cndmask_b32_e32 v171, 0, v171, vcc                       // 00000000D98C: 01575680
	v_and_b32_e32 v171, v171, v170                             // 00000000D990: 275755AB
	v_accvgpr_write_b32 a93, v171                              // 00000000D994: D3D9405D 180001AB
	v_accvgpr_read_b32 v171, a109                              // 00000000D99C: D3D840AB 1800016D
	v_cndmask_b32_e32 v171, 0, v171, vcc                       // 00000000D9A4: 01575680
	v_and_b32_e32 v171, v171, v170                             // 00000000D9A8: 275755AB
	v_accvgpr_write_b32 a109, v171                             // 00000000D9AC: D3D9406D 180001AB
	s_mov_b32 s54, 0x48                                        // 00000000D9B4: BEB600FF 00000048
	v_add_i32 v169, s54, v168                                  // 00000000D9BC: D29C00A9 00035036
	v_cmp_lt_i32_e64 vcc, v169, 4                              // 00000000D9C4: D0C1006A 000109A9
	v_min_u32_e32 v169, 4, v169                                // 00000000D9CC: 1D535284
	v_lshlrev_b32_e32 v169, 3, v169                            // 00000000D9D0: 25535283
	v_lshrrev_b32_e64 v170, v169, -1                           // 00000000D9D4: D11000AA 000183A9
	v_accvgpr_read_b32 v171, a94                               // 00000000D9DC: D3D840AB 1800015E
	v_cndmask_b32_e32 v171, 0, v171, vcc                       // 00000000D9E4: 01575680
	v_and_b32_e32 v171, v171, v170                             // 00000000D9E8: 275755AB
	v_accvgpr_write_b32 a94, v171                              // 00000000D9EC: D3D9405E 180001AB
	v_accvgpr_read_b32 v171, a110                              // 00000000D9F4: D3D840AB 1800016E
	v_cndmask_b32_e32 v171, 0, v171, vcc                       // 00000000D9FC: 01575680
	v_and_b32_e32 v171, v171, v170                             // 00000000DA00: 275755AB
	v_accvgpr_write_b32 a110, v171                             // 00000000DA04: D3D9406E 180001AB
	s_mov_b32 s54, 0x4c                                        // 00000000DA0C: BEB600FF 0000004C
	v_add_i32 v169, s54, v168                                  // 00000000DA14: D29C00A9 00035036
	v_cmp_lt_i32_e64 vcc, v169, 4                              // 00000000DA1C: D0C1006A 000109A9
	v_min_u32_e32 v169, 4, v169                                // 00000000DA24: 1D535284
	v_lshlrev_b32_e32 v169, 3, v169                            // 00000000DA28: 25535283
	v_lshrrev_b32_e64 v170, v169, -1                           // 00000000DA2C: D11000AA 000183A9
	v_accvgpr_read_b32 v171, a95                               // 00000000DA34: D3D840AB 1800015F
	v_cndmask_b32_e32 v171, 0, v171, vcc                       // 00000000DA3C: 01575680
	v_and_b32_e32 v171, v171, v170                             // 00000000DA40: 275755AB
	v_accvgpr_write_b32 a95, v171                              // 00000000DA44: D3D9405F 180001AB
	v_accvgpr_read_b32 v171, a111                              // 00000000DA4C: D3D840AB 1800016F
	v_cndmask_b32_e32 v171, 0, v171, vcc                       // 00000000DA54: 01575680
	v_and_b32_e32 v171, v171, v170                             // 00000000DA58: 275755AB
	v_accvgpr_write_b32 a111, v171                             // 00000000DA5C: D3D9406F 180001AB
	s_mov_b32 s54, 0x80                                        // 00000000DA64: BEB600FF 00000080
	v_add_i32 v169, s54, v168                                  // 00000000DA6C: D29C00A9 00035036
	v_cmp_lt_i32_e64 vcc, v169, 4                              // 00000000DA74: D0C1006A 000109A9
	v_min_u32_e32 v169, 4, v169                                // 00000000DA7C: 1D535284
	v_lshlrev_b32_e32 v169, 3, v169                            // 00000000DA80: 25535283
	v_lshrrev_b32_e64 v170, v169, -1                           // 00000000DA84: D11000AA 000183A9
	v_accvgpr_read_b32 v171, a96                               // 00000000DA8C: D3D840AB 18000160
	v_cndmask_b32_e32 v171, 0, v171, vcc                       // 00000000DA94: 01575680
	v_and_b32_e32 v171, v171, v170                             // 00000000DA98: 275755AB
	v_accvgpr_write_b32 a96, v171                              // 00000000DA9C: D3D94060 180001AB
	v_accvgpr_read_b32 v171, a112                              // 00000000DAA4: D3D840AB 18000170
	v_cndmask_b32_e32 v171, 0, v171, vcc                       // 00000000DAAC: 01575680
	v_and_b32_e32 v171, v171, v170                             // 00000000DAB0: 275755AB
	v_accvgpr_write_b32 a112, v171                             // 00000000DAB4: D3D94070 180001AB
	s_mov_b32 s54, 0x84                                        // 00000000DABC: BEB600FF 00000084
	v_add_i32 v169, s54, v168                                  // 00000000DAC4: D29C00A9 00035036
	v_cmp_lt_i32_e64 vcc, v169, 4                              // 00000000DACC: D0C1006A 000109A9
	v_min_u32_e32 v169, 4, v169                                // 00000000DAD4: 1D535284
	v_lshlrev_b32_e32 v169, 3, v169                            // 00000000DAD8: 25535283
	v_lshrrev_b32_e64 v170, v169, -1                           // 00000000DADC: D11000AA 000183A9
	v_accvgpr_read_b32 v171, a97                               // 00000000DAE4: D3D840AB 18000161
	v_cndmask_b32_e32 v171, 0, v171, vcc                       // 00000000DAEC: 01575680
	v_and_b32_e32 v171, v171, v170                             // 00000000DAF0: 275755AB
	v_accvgpr_write_b32 a97, v171                              // 00000000DAF4: D3D94061 180001AB
	v_accvgpr_read_b32 v171, a113                              // 00000000DAFC: D3D840AB 18000171
	v_cndmask_b32_e32 v171, 0, v171, vcc                       // 00000000DB04: 01575680
	v_and_b32_e32 v171, v171, v170                             // 00000000DB08: 275755AB
	v_accvgpr_write_b32 a113, v171                             // 00000000DB0C: D3D94071 180001AB
	s_mov_b32 s54, 0x88                                        // 00000000DB14: BEB600FF 00000088
	v_add_i32 v169, s54, v168                                  // 00000000DB1C: D29C00A9 00035036
	v_cmp_lt_i32_e64 vcc, v169, 4                              // 00000000DB24: D0C1006A 000109A9
	v_min_u32_e32 v169, 4, v169                                // 00000000DB2C: 1D535284
	v_lshlrev_b32_e32 v169, 3, v169                            // 00000000DB30: 25535283
	v_lshrrev_b32_e64 v170, v169, -1                           // 00000000DB34: D11000AA 000183A9
	v_accvgpr_read_b32 v171, a98                               // 00000000DB3C: D3D840AB 18000162
	v_cndmask_b32_e32 v171, 0, v171, vcc                       // 00000000DB44: 01575680
	v_and_b32_e32 v171, v171, v170                             // 00000000DB48: 275755AB
	v_accvgpr_write_b32 a98, v171                              // 00000000DB4C: D3D94062 180001AB
	v_accvgpr_read_b32 v171, a114                              // 00000000DB54: D3D840AB 18000172
	v_cndmask_b32_e32 v171, 0, v171, vcc                       // 00000000DB5C: 01575680
	v_and_b32_e32 v171, v171, v170                             // 00000000DB60: 275755AB
	v_accvgpr_write_b32 a114, v171                             // 00000000DB64: D3D94072 180001AB
	s_mov_b32 s54, 0x8c                                        // 00000000DB6C: BEB600FF 0000008C
	v_add_i32 v169, s54, v168                                  // 00000000DB74: D29C00A9 00035036
	v_cmp_lt_i32_e64 vcc, v169, 4                              // 00000000DB7C: D0C1006A 000109A9
	v_min_u32_e32 v169, 4, v169                                // 00000000DB84: 1D535284
	v_lshlrev_b32_e32 v169, 3, v169                            // 00000000DB88: 25535283
	v_lshrrev_b32_e64 v170, v169, -1                           // 00000000DB8C: D11000AA 000183A9
	v_accvgpr_read_b32 v171, a99                               // 00000000DB94: D3D840AB 18000163
	v_cndmask_b32_e32 v171, 0, v171, vcc                       // 00000000DB9C: 01575680
	v_and_b32_e32 v171, v171, v170                             // 00000000DBA0: 275755AB
	v_accvgpr_write_b32 a99, v171                              // 00000000DBA4: D3D94063 180001AB
	v_accvgpr_read_b32 v171, a115                              // 00000000DBAC: D3D840AB 18000173
	v_cndmask_b32_e32 v171, 0, v171, vcc                       // 00000000DBB4: 01575680
	v_and_b32_e32 v171, v171, v170                             // 00000000DBB8: 275755AB
	v_accvgpr_write_b32 a115, v171                             // 00000000DBBC: D3D94073 180001AB
	s_mov_b32 s54, 0xc0                                        // 00000000DBC4: BEB600FF 000000C0
	v_add_i32 v169, s54, v168                                  // 00000000DBCC: D29C00A9 00035036
	v_cmp_lt_i32_e64 vcc, v169, 4                              // 00000000DBD4: D0C1006A 000109A9
	v_min_u32_e32 v169, 4, v169                                // 00000000DBDC: 1D535284
	v_lshlrev_b32_e32 v169, 3, v169                            // 00000000DBE0: 25535283
	v_lshrrev_b32_e64 v170, v169, -1                           // 00000000DBE4: D11000AA 000183A9
	v_accvgpr_read_b32 v171, a100                              // 00000000DBEC: D3D840AB 18000164
	v_cndmask_b32_e32 v171, 0, v171, vcc                       // 00000000DBF4: 01575680
	v_and_b32_e32 v171, v171, v170                             // 00000000DBF8: 275755AB
	v_accvgpr_write_b32 a100, v171                             // 00000000DBFC: D3D94064 180001AB
	v_accvgpr_read_b32 v171, a116                              // 00000000DC04: D3D840AB 18000174
	v_cndmask_b32_e32 v171, 0, v171, vcc                       // 00000000DC0C: 01575680
	v_and_b32_e32 v171, v171, v170                             // 00000000DC10: 275755AB
	v_accvgpr_write_b32 a116, v171                             // 00000000DC14: D3D94074 180001AB
	s_mov_b32 s54, 0xc4                                        // 00000000DC1C: BEB600FF 000000C4
	v_add_i32 v169, s54, v168                                  // 00000000DC24: D29C00A9 00035036
	v_cmp_lt_i32_e64 vcc, v169, 4                              // 00000000DC2C: D0C1006A 000109A9
	v_min_u32_e32 v169, 4, v169                                // 00000000DC34: 1D535284
	v_lshlrev_b32_e32 v169, 3, v169                            // 00000000DC38: 25535283
	v_lshrrev_b32_e64 v170, v169, -1                           // 00000000DC3C: D11000AA 000183A9
	v_accvgpr_read_b32 v171, a101                              // 00000000DC44: D3D840AB 18000165
	v_cndmask_b32_e32 v171, 0, v171, vcc                       // 00000000DC4C: 01575680
	v_and_b32_e32 v171, v171, v170                             // 00000000DC50: 275755AB
	v_accvgpr_write_b32 a101, v171                             // 00000000DC54: D3D94065 180001AB
	v_accvgpr_read_b32 v171, a117                              // 00000000DC5C: D3D840AB 18000175
	v_cndmask_b32_e32 v171, 0, v171, vcc                       // 00000000DC64: 01575680
	v_and_b32_e32 v171, v171, v170                             // 00000000DC68: 275755AB
	v_accvgpr_write_b32 a117, v171                             // 00000000DC6C: D3D94075 180001AB
	s_mov_b32 s54, 0xc8                                        // 00000000DC74: BEB600FF 000000C8
	v_add_i32 v169, s54, v168                                  // 00000000DC7C: D29C00A9 00035036
	v_cmp_lt_i32_e64 vcc, v169, 4                              // 00000000DC84: D0C1006A 000109A9
	v_min_u32_e32 v169, 4, v169                                // 00000000DC8C: 1D535284
	v_lshlrev_b32_e32 v169, 3, v169                            // 00000000DC90: 25535283
	v_lshrrev_b32_e64 v170, v169, -1                           // 00000000DC94: D11000AA 000183A9
	v_accvgpr_read_b32 v171, a102                              // 00000000DC9C: D3D840AB 18000166
	v_cndmask_b32_e32 v171, 0, v171, vcc                       // 00000000DCA4: 01575680
	v_and_b32_e32 v171, v171, v170                             // 00000000DCA8: 275755AB
	v_accvgpr_write_b32 a102, v171                             // 00000000DCAC: D3D94066 180001AB
	v_accvgpr_read_b32 v171, a118                              // 00000000DCB4: D3D840AB 18000176
	v_cndmask_b32_e32 v171, 0, v171, vcc                       // 00000000DCBC: 01575680
	v_and_b32_e32 v171, v171, v170                             // 00000000DCC0: 275755AB
	v_accvgpr_write_b32 a118, v171                             // 00000000DCC4: D3D94076 180001AB
	s_mov_b32 s54, 0xcc                                        // 00000000DCCC: BEB600FF 000000CC
	v_add_i32 v169, s54, v168                                  // 00000000DCD4: D29C00A9 00035036
	v_cmp_lt_i32_e64 vcc, v169, 4                              // 00000000DCDC: D0C1006A 000109A9
	v_min_u32_e32 v169, 4, v169                                // 00000000DCE4: 1D535284
	v_lshlrev_b32_e32 v169, 3, v169                            // 00000000DCE8: 25535283
	v_lshrrev_b32_e64 v170, v169, -1                           // 00000000DCEC: D11000AA 000183A9
	v_accvgpr_read_b32 v171, a103                              // 00000000DCF4: D3D840AB 18000167
	v_cndmask_b32_e32 v171, 0, v171, vcc                       // 00000000DCFC: 01575680
	v_and_b32_e32 v171, v171, v170                             // 00000000DD00: 275755AB
	v_accvgpr_write_b32 a103, v171                             // 00000000DD04: D3D94067 180001AB
	v_accvgpr_read_b32 v171, a119                              // 00000000DD0C: D3D840AB 18000177
	v_cndmask_b32_e32 v171, 0, v171, vcc                       // 00000000DD14: 01575680
	v_and_b32_e32 v171, v171, v170                             // 00000000DD18: 275755AB
	v_accvgpr_write_b32 a119, v171                             // 00000000DD1C: D3D94077 180001AB
	s_waitcnt lgkmcnt(11)                                      // 00000000DD24: BF8CCB7F
	v_mfma_f32_16x16x32_fp8_fp8 v[100:103], a[88:89], v[4:5], 0// 00000000DD28: D3F30064 0A020958
	s_lshl_b32 s68, s76, 2                                     // 00000000DD30: 8E44824C
	v_mfma_f32_16x16x32_fp8_fp8 v[104:107], a[104:105], v[4:5], 0// 00000000DD34: D3F30068 0A020968
	s_cmp_lt_u32 s76, s77                                      // 00000000DD3C: BF0A4D4C
	s_cselect_b32 s68, s68, 0                                  // 00000000DD40: 85448044
	v_mfma_f32_16x16x32_fp8_fp8 v[100:103], a[90:91], v[6:7], v[100:103]// 00000000DD44: D3F30064 0D920D5A
	buffer_load_dwordx4 a[120:123], v234, s[16:19], 0 offen    // 00000000DD4C: E05C1000 808478EA
	v_mfma_f32_16x16x32_fp8_fp8 v[104:107], a[106:107], v[6:7], v[104:107]// 00000000DD54: D3F30068 0DA20D6A
	s_addk_i32 s76, 0x1                                        // 00000000DD5C: B74C0001
	s_waitcnt lgkmcnt(10)                                      // 00000000DD60: BF8CCA7F
	v_mfma_f32_16x16x32_fp8_fp8 v[100:103], a[92:93], v[8:9], v[100:103]// 00000000DD64: D3F30064 0D92115C
	v_mfma_f32_16x16x32_fp8_fp8 v[104:107], a[108:109], v[8:9], v[104:107]// 00000000DD6C: D3F30068 0DA2116C
	v_mfma_f32_16x16x32_fp8_fp8 v[100:103], a[94:95], v[10:11], v[100:103]// 00000000DD74: D3F30064 0D92155E
	buffer_load_dwordx4 a[124:127], v235, s[16:19], 0 offen    // 00000000DD7C: E05C1000 80847CEB
	v_mfma_f32_16x16x32_fp8_fp8 v[104:107], a[110:111], v[10:11], v[104:107]// 00000000DD84: D3F30068 0DA2156E
	s_waitcnt lgkmcnt(9)                                       // 00000000DD8C: BF8CC97F
	v_mfma_f32_16x16x32_fp8_fp8 v[100:103], a[96:97], v[12:13], v[100:103]// 00000000DD90: D3F30064 0D921960
	v_mfma_f32_16x16x32_fp8_fp8 v[104:107], a[112:113], v[12:13], v[104:107]// 00000000DD98: D3F30068 0DA21970
	v_mfma_f32_16x16x32_fp8_fp8 v[100:103], a[98:99], v[14:15], v[100:103]// 00000000DDA0: D3F30064 0D921D62
	buffer_load_dwordx4 a[128:131], v236, s[16:19], 0 offen    // 00000000DDA8: E05C1000 808480EC
	v_mfma_f32_16x16x32_fp8_fp8 v[104:107], a[114:115], v[14:15], v[104:107]// 00000000DDB0: D3F30068 0DA21D72
	s_waitcnt lgkmcnt(8)                                       // 00000000DDB8: BF8CC87F
	v_mfma_f32_16x16x32_fp8_fp8 v[100:103], a[100:101], v[16:17], v[100:103]// 00000000DDBC: D3F30064 0D922164
	v_mfma_f32_16x16x32_fp8_fp8 v[104:107], a[116:117], v[16:17], v[104:107]// 00000000DDC4: D3F30068 0DA22174
	v_mfma_f32_16x16x32_fp8_fp8 v[100:103], a[102:103], v[18:19], v[100:103]// 00000000DDCC: D3F30064 0D922566
	buffer_load_dwordx4 a[132:135], v237, s[16:19], 0 offen    // 00000000DDD4: E05C1000 808484ED
	v_mfma_f32_16x16x32_fp8_fp8 v[104:107], a[118:119], v[18:19], v[104:107]// 00000000DDDC: D3F30068 0DA22576
	s_waitcnt lgkmcnt(7)                                       // 00000000DDE4: BF8CC77F
	v_mfma_f32_16x16x32_fp8_fp8 v[108:111], a[88:89], v[20:21], 0// 00000000DDE8: D3F3006C 0A022958
	v_mfma_f32_16x16x32_fp8_fp8 v[112:115], a[104:105], v[20:21], 0// 00000000DDF0: D3F30070 0A022968
	v_mfma_f32_16x16x32_fp8_fp8 v[108:111], a[90:91], v[22:23], v[108:111]// 00000000DDF8: D3F3006C 0DB22D5A
	buffer_load_dwordx4 a[136:139], v234, s[16:19], 0 offen offset:1024// 00000000DE00: E05C1400 808488EA
	v_mfma_f32_16x16x32_fp8_fp8 v[112:115], a[106:107], v[22:23], v[112:115]// 00000000DE08: D3F30070 0DC22D6A
	s_waitcnt lgkmcnt(6)                                       // 00000000DE10: BF8CC67F
	v_mfma_f32_16x16x32_fp8_fp8 v[108:111], a[92:93], v[24:25], v[108:111]// 00000000DE14: D3F3006C 0DB2315C
	v_mfma_f32_16x16x32_fp8_fp8 v[112:115], a[108:109], v[24:25], v[112:115]// 00000000DE1C: D3F30070 0DC2316C
	v_mfma_f32_16x16x32_fp8_fp8 v[108:111], a[94:95], v[26:27], v[108:111]// 00000000DE24: D3F3006C 0DB2355E
	buffer_load_dwordx4 a[140:143], v235, s[16:19], 0 offen offset:1024// 00000000DE2C: E05C1400 80848CEB
	v_mfma_f32_16x16x32_fp8_fp8 v[112:115], a[110:111], v[26:27], v[112:115]// 00000000DE34: D3F30070 0DC2356E
	s_waitcnt lgkmcnt(5)                                       // 00000000DE3C: BF8CC57F
	v_mfma_f32_16x16x32_fp8_fp8 v[108:111], a[96:97], v[28:29], v[108:111]// 00000000DE40: D3F3006C 0DB23960
	v_mfma_f32_16x16x32_fp8_fp8 v[112:115], a[112:113], v[28:29], v[112:115]// 00000000DE48: D3F30070 0DC23970
	v_mfma_f32_16x16x32_fp8_fp8 v[108:111], a[98:99], v[30:31], v[108:111]// 00000000DE50: D3F3006C 0DB23D62
	buffer_load_dwordx4 a[144:147], v236, s[16:19], 0 offen offset:1024// 00000000DE58: E05C1400 808490EC
	v_mfma_f32_16x16x32_fp8_fp8 v[112:115], a[114:115], v[30:31], v[112:115]// 00000000DE60: D3F30070 0DC23D72
	s_waitcnt lgkmcnt(4)                                       // 00000000DE68: BF8CC47F
	v_mfma_f32_16x16x32_fp8_fp8 v[108:111], a[100:101], v[32:33], v[108:111]// 00000000DE6C: D3F3006C 0DB24164
	v_mfma_f32_16x16x32_fp8_fp8 v[112:115], a[116:117], v[32:33], v[112:115]// 00000000DE74: D3F30070 0DC24174
	v_mfma_f32_16x16x32_fp8_fp8 v[108:111], a[102:103], v[34:35], v[108:111]// 00000000DE7C: D3F3006C 0DB24566
	buffer_load_dwordx4 a[148:151], v237, s[16:19], 0 offen offset:1024// 00000000DE84: E05C1400 808494ED
	v_mfma_f32_16x16x32_fp8_fp8 v[112:115], a[118:119], v[34:35], v[112:115]// 00000000DE8C: D3F30070 0DC24576
	s_waitcnt lgkmcnt(3)                                       // 00000000DE94: BF8CC37F
	v_mfma_f32_16x16x32_fp8_fp8 v[116:119], a[88:89], v[36:37], 0// 00000000DE98: D3F30074 0A024958
	v_mfma_f32_16x16x32_fp8_fp8 v[120:123], a[104:105], v[36:37], 0// 00000000DEA0: D3F30078 0A024968
	v_mfma_f32_16x16x32_fp8_fp8 v[116:119], a[90:91], v[38:39], v[116:119]// 00000000DEA8: D3F30074 0DD24D5A
	v_mfma_f32_16x16x32_fp8_fp8 v[120:123], a[106:107], v[38:39], v[120:123]// 00000000DEB0: D3F30078 0DE24D6A
	s_waitcnt lgkmcnt(2)                                       // 00000000DEB8: BF8CC27F
	v_mfma_f32_16x16x32_fp8_fp8 v[116:119], a[92:93], v[40:41], v[116:119]// 00000000DEBC: D3F30074 0DD2515C
	v_mfma_f32_16x16x32_fp8_fp8 v[120:123], a[108:109], v[40:41], v[120:123]// 00000000DEC4: D3F30078 0DE2516C
	v_mfma_f32_16x16x32_fp8_fp8 v[116:119], a[94:95], v[42:43], v[116:119]// 00000000DECC: D3F30074 0DD2555E
	v_mfma_f32_16x16x32_fp8_fp8 v[120:123], a[110:111], v[42:43], v[120:123]// 00000000DED4: D3F30078 0DE2556E
	s_waitcnt lgkmcnt(1)                                       // 00000000DEDC: BF8CC17F
	v_mfma_f32_16x16x32_fp8_fp8 v[116:119], a[96:97], v[44:45], v[116:119]// 00000000DEE0: D3F30074 0DD25960
	v_mfma_f32_16x16x32_fp8_fp8 v[120:123], a[112:113], v[44:45], v[120:123]// 00000000DEE8: D3F30078 0DE25970
	v_mfma_f32_16x16x32_fp8_fp8 v[116:119], a[98:99], v[46:47], v[116:119]// 00000000DEF0: D3F30074 0DD25D62
	v_mfma_f32_16x16x32_fp8_fp8 v[120:123], a[114:115], v[46:47], v[120:123]// 00000000DEF8: D3F30078 0DE25D72
	s_waitcnt lgkmcnt(0)                                       // 00000000DF00: BF8CC07F
	v_mfma_f32_16x16x32_fp8_fp8 v[116:119], a[100:101], v[48:49], v[116:119]// 00000000DF04: D3F30074 0DD26164
	v_mfma_f32_16x16x32_fp8_fp8 v[120:123], a[116:117], v[48:49], v[120:123]// 00000000DF0C: D3F30078 0DE26174
	v_mfma_f32_16x16x32_fp8_fp8 v[116:119], a[102:103], v[50:51], v[116:119]// 00000000DF14: D3F30074 0DD26566
	v_mfma_f32_16x16x32_fp8_fp8 v[120:123], a[118:119], v[50:51], v[120:123]// 00000000DF1C: D3F30078 0DE26576
	s_load_dword s59, s[42:43], s68                            // 00000000DF24: C0000ED5 00000044
	s_addk_i32 s64, 0x100                                      // 00000000DF2C: B7400100

000000000000df30 <label_2DCC>:
	s_cmp_lt_i32 s64, s62                                      // 00000000DF30: BF043E40
	s_cbranch_scc0 label_440C                                  // 00000000DF34: BF84163E
	s_waitcnt vmcnt(10)                                        // 00000000DF38: BF8C0F7A
	v_mfma_f32_16x16x32_fp8_fp8 v[4:7], a[56:57], a[0:1], 0    // 00000000DF3C: D3F30004 1A020138
	s_add_u32 s12, s86, s69                                    // 00000000DF44: 800C4556
	s_addc_u32 s13, s87, 0                                     // 00000000DF48: 820D8057
	v_mfma_f32_16x16x32_fp8_fp8 v[4:7], a[58:59], a[2:3], v[4:7]// 00000000DF4C: D3F30004 1C12053A
	s_add_u32 s16, s88, s70                                    // 00000000DF54: 80104658
	s_addc_u32 s17, s89, 0                                     // 00000000DF58: 82118059
	v_mfma_f32_16x16x32_fp8_fp8 v[4:7], a[60:61], a[4:5], v[4:7]// 00000000DF5C: D3F30004 1C12093C
	buffer_load_dwordx4 a[24:27], v232, s[12:15], 0 offen      // 00000000DF64: E05C1000 808318E8
	v_mfma_f32_16x16x32_fp8_fp8 v[4:7], a[62:63], a[6:7], v[4:7]// 00000000DF6C: D3F30004 1C120D3E
	s_add_u32 s20, s90, s71                                    // 00000000DF74: 8014475A
	s_addc_u32 s21, s91, 0                                     // 00000000DF78: 8215805B
	v_mfma_f32_16x16x32_fp8_fp8 v[8:11], a[64:65], a[0:1], 0   // 00000000DF7C: D3F30008 1A020140
	s_add_u32 s24, s92, s71                                    // 00000000DF84: 8018475C
	s_addc_u32 s25, s93, 0                                     // 00000000DF88: 8219805D
	v_mfma_f32_16x16x32_fp8_fp8 v[8:11], a[66:67], a[2:3], v[8:11]// 00000000DF8C: D3F30008 1C220542
	s_add_u32 s69, s69, 0x1000                                 // 00000000DF94: 8045FF45 00001000
	s_add_u32 s70, s70, 0x8000                                 // 00000000DF9C: 8046FF46 00008000
	v_mfma_f32_16x16x32_fp8_fp8 v[8:11], a[68:69], a[4:5], v[8:11]// 00000000DFA4: D3F30008 1C220944
	buffer_load_dwordx4 a[28:31], v233, s[12:15], 0 offen      // 00000000DFAC: E05C1000 80831CE9
	v_mfma_f32_16x16x32_fp8_fp8 v[8:11], a[70:71], a[6:7], v[8:11]// 00000000DFB4: D3F30008 1C220D46
	s_add_u32 s71, s71, 0x400                                  // 00000000DFBC: 8047FF47 00000400
	v_mfma_f32_16x16x32_fp8_fp8 v[12:15], a[72:73], a[0:1], 0  // 00000000DFC4: D3F3000C 1A020148
	v_mfma_f32_16x16x32_fp8_fp8 v[12:15], a[74:75], a[2:3], v[12:15]// 00000000DFCC: D3F3000C 1C32054A
	v_mfma_f32_16x16x32_fp8_fp8 v[12:15], a[76:77], a[4:5], v[12:15]// 00000000DFD4: D3F3000C 1C32094C
	buffer_load_dwordx4 a[32:35], v232, s[12:15], 0 offen offset:1024// 00000000DFDC: E05C1400 808320E8
	v_mfma_f32_16x16x32_fp8_fp8 v[12:15], a[78:79], a[6:7], v[12:15]// 00000000DFE4: D3F3000C 1C320D4E
	v_mfma_f32_16x16x32_fp8_fp8 v[16:19], a[80:81], a[0:1], 0  // 00000000DFEC: D3F30010 1A020150
	v_mfma_f32_16x16x32_fp8_fp8 v[16:19], a[82:83], a[2:3], v[16:19]// 00000000DFF4: D3F30010 1C420552
	v_mfma_f32_16x16x32_fp8_fp8 v[16:19], a[84:85], a[4:5], v[16:19]// 00000000DFFC: D3F30010 1C420954
	buffer_load_dwordx4 a[36:39], v233, s[12:15], 0 offen offset:1024// 00000000E004: E05C1400 808324E9
	v_mfma_f32_16x16x32_fp8_fp8 v[16:19], a[86:87], a[6:7], v[16:19]// 00000000E00C: D3F30010 1C420D56
	v_mfma_f32_16x16x32_fp8_fp8 v[20:23], a[56:57], a[8:9], 0  // 00000000E014: D3F30014 1A021138
	v_mfma_f32_16x16x32_fp8_fp8 v[20:23], a[58:59], a[10:11], v[20:23]// 00000000E01C: D3F30014 1C52153A
	v_mfma_f32_16x16x32_fp8_fp8 v[20:23], a[60:61], a[12:13], v[20:23]// 00000000E024: D3F30014 1C52193C
	buffer_load_dwordx4 a[40:43], v232, s[12:15], 0 offen offset:2048// 00000000E02C: E05C1800 808328E8
	v_mfma_f32_16x16x32_fp8_fp8 v[20:23], a[62:63], a[14:15], v[20:23]// 00000000E034: D3F30014 1C521D3E
	v_mfma_f32_16x16x32_fp8_fp8 v[24:27], a[64:65], a[8:9], 0  // 00000000E03C: D3F30018 1A021140
	v_mfma_f32_16x16x32_fp8_fp8 v[24:27], a[66:67], a[10:11], v[24:27]// 00000000E044: D3F30018 1C621542
	v_mfma_f32_16x16x32_fp8_fp8 v[24:27], a[68:69], a[12:13], v[24:27]// 00000000E04C: D3F30018 1C621944
	buffer_load_dwordx4 a[44:47], v233, s[12:15], 0 offen offset:2048// 00000000E054: E05C1800 80832CE9
	v_mfma_f32_16x16x32_fp8_fp8 v[24:27], a[70:71], a[14:15], v[24:27]// 00000000E05C: D3F30018 1C621D46
	v_mfma_f32_16x16x32_fp8_fp8 v[28:31], a[72:73], a[8:9], 0  // 00000000E064: D3F3001C 1A021148
	v_mfma_f32_16x16x32_fp8_fp8 v[28:31], a[74:75], a[10:11], v[28:31]// 00000000E06C: D3F3001C 1C72154A
	v_mfma_f32_16x16x32_fp8_fp8 v[28:31], a[76:77], a[12:13], v[28:31]// 00000000E074: D3F3001C 1C72194C
	buffer_load_dwordx4 a[48:51], v232, s[12:15], 0 offen offset:3072// 00000000E07C: E05C1C00 808330E8
	v_mfma_f32_16x16x32_fp8_fp8 v[28:31], a[78:79], a[14:15], v[28:31]// 00000000E084: D3F3001C 1C721D4E
	v_mfma_f32_16x16x32_fp8_fp8 v[32:35], a[80:81], a[8:9], 0  // 00000000E08C: D3F30020 1A021150
	v_mfma_f32_16x16x32_fp8_fp8 v[32:35], a[82:83], a[10:11], v[32:35]// 00000000E094: D3F30020 1C821552
	v_mfma_f32_16x16x32_fp8_fp8 v[32:35], a[84:85], a[12:13], v[32:35]// 00000000E09C: D3F30020 1C821954
	buffer_load_dwordx4 a[52:55], v233, s[12:15], 0 offen offset:3072// 00000000E0A4: E05C1C00 808334E9
	v_mfma_f32_16x16x32_fp8_fp8 v[32:35], a[86:87], a[14:15], v[32:35]// 00000000E0AC: D3F30020 1C821D56
	v_mfma_f32_16x16x32_fp8_fp8 v[36:39], a[56:57], a[16:17], 0// 00000000E0B4: D3F30024 1A022138
	v_mfma_f32_16x16x32_fp8_fp8 v[36:39], a[58:59], a[18:19], v[36:39]// 00000000E0BC: D3F30024 1C92253A
	v_mfma_f32_16x16x32_fp8_fp8 v[36:39], a[60:61], a[20:21], v[36:39]// 00000000E0C4: D3F30024 1C92293C
	v_mfma_f32_16x16x32_fp8_fp8 v[36:39], a[62:63], a[22:23], v[36:39]// 00000000E0CC: D3F30024 1C922D3E
	v_mfma_f32_16x16x32_fp8_fp8 v[40:43], a[64:65], a[16:17], 0// 00000000E0D4: D3F30028 1A022140
	v_mfma_f32_16x16x32_fp8_fp8 v[40:43], a[66:67], a[18:19], v[40:43]// 00000000E0DC: D3F30028 1CA22542
	v_mfma_f32_16x16x32_fp8_fp8 v[40:43], a[68:69], a[20:21], v[40:43]// 00000000E0E4: D3F30028 1CA22944
	v_mfma_f32_16x16x32_fp8_fp8 v[40:43], a[70:71], a[22:23], v[40:43]// 00000000E0EC: D3F30028 1CA22D46
	v_mfma_f32_16x16x32_fp8_fp8 v[44:47], a[72:73], a[16:17], 0// 00000000E0F4: D3F3002C 1A022148
	v_mfma_f32_16x16x32_fp8_fp8 v[44:47], a[74:75], a[18:19], v[44:47]// 00000000E0FC: D3F3002C 1CB2254A
	v_mfma_f32_16x16x32_fp8_fp8 v[44:47], a[76:77], a[20:21], v[44:47]// 00000000E104: D3F3002C 1CB2294C
	v_mfma_f32_16x16x32_fp8_fp8 v[44:47], a[78:79], a[22:23], v[44:47]// 00000000E10C: D3F3002C 1CB22D4E
	v_mfma_f32_16x16x32_fp8_fp8 v[48:51], a[80:81], a[16:17], 0// 00000000E114: D3F30030 1A022150
	v_mfma_f32_16x16x32_fp8_fp8 v[48:51], a[82:83], a[18:19], v[48:51]// 00000000E11C: D3F30030 1CC22552
	v_mfma_f32_16x16x32_fp8_fp8 v[48:51], a[84:85], a[20:21], v[48:51]// 00000000E124: D3F30030 1CC22954
	v_mfma_f32_16x16x32_fp8_fp8 v[48:51], a[86:87], a[22:23], v[48:51]// 00000000E12C: D3F30030 1CC22D56
	s_waitcnt vmcnt(16)                                        // 00000000E134: BF8C4F70
	v_or_b32_dpp v36, v44, v36 row_shr:8 row_mask:0xf bank_mask:0xf bound_ctrl:1// 00000000E138: 284848FA FF09182C
	v_or_b32_dpp v37, v45, v37 row_shr:8 row_mask:0xf bank_mask:0xf bound_ctrl:1// 00000000E140: 284A4AFA FF09182D
	v_or_b32_dpp v38, v46, v38 row_shr:8 row_mask:0xf bank_mask:0xf bound_ctrl:1// 00000000E148: 284C4CFA FF09182E
	v_or_b32_dpp v39, v47, v39 row_shr:8 row_mask:0xf bank_mask:0xf bound_ctrl:1// 00000000E150: 284E4EFA FF09182F
	v_or_b32_dpp v40, v48, v40 row_shr:8 row_mask:0xf bank_mask:0xf bound_ctrl:1// 00000000E158: 285050FA FF091830
	v_or_b32_dpp v41, v49, v41 row_shr:8 row_mask:0xf bank_mask:0xf bound_ctrl:1// 00000000E160: 285252FA FF091831
	v_or_b32_dpp v42, v50, v42 row_shr:8 row_mask:0xf bank_mask:0xf bound_ctrl:1// 00000000E168: 285454FA FF091832
	v_or_b32_dpp v43, v51, v43 row_shr:8 row_mask:0xf bank_mask:0xf bound_ctrl:1// 00000000E170: 285656FA FF091833
	v_mov_b32_dpp v168, v155 row_shr:4 row_mask:0xf bank_mask:0xf// 00000000E178: 7F5002FA FF01149B
	v_mov_b32_dpp v169, v155 row_shl:4 row_mask:0xf bank_mask:0xf// 00000000E180: 7F5202FA FF01049B
	v_cndmask_b32_e64 v164, v155, v168, s[2:3]                 // 00000000E188: D10000A4 000B519B
	v_cndmask_b32_e64 v165, v169, v155, s[2:3]                 // 00000000E190: D10000A5 000B37A9
	v_mov_b32_dpp v168, v157 row_shr:4 row_mask:0xf bank_mask:0xf// 00000000E198: 7F5002FA FF01149D
	v_mov_b32_dpp v169, v157 row_shl:4 row_mask:0xf bank_mask:0xf// 00000000E1A0: 7F5202FA FF01049D
	v_cndmask_b32_e64 v166, v157, v168, s[2:3]                 // 00000000E1A8: D10000A6 000B519D
	v_cndmask_b32_e64 v167, v169, v157, s[2:3]                 // 00000000E1B0: D10000A7 000B3BA9
	v_pk_mul_f32 v[4:5], v[148:149], v[4:5]                    // 00000000E1B8: D3B14004 18020994
	v_pk_mul_f32 v[6:7], v[148:149], v[6:7]                    // 00000000E1C0: D3B14006 18020D94
	v_pk_mul_f32 v[8:9], v[148:149], v[8:9]                    // 00000000E1C8: D3B14008 18021194
	v_pk_mul_f32 v[10:11], v[148:149], v[10:11]                // 00000000E1D0: D3B1400A 18021594
	v_pk_mul_f32 v[12:13], v[148:149], v[12:13]                // 00000000E1D8: D3B1400C 18021994
	v_pk_mul_f32 v[14:15], v[148:149], v[14:15]                // 00000000E1E0: D3B1400E 18021D94
	v_pk_mul_f32 v[16:17], v[148:149], v[16:17]                // 00000000E1E8: D3B14010 18022194
	v_pk_mul_f32 v[18:19], v[148:149], v[18:19]                // 00000000E1F0: D3B14012 18022594
	v_mul_f32_dpp v4, v155, v4 row_newbcast:0 row_mask:0xf bank_mask:0xf// 00000000E1F8: 0A0808FA FF01509B
	v_mul_f32_dpp v5, v155, v5 row_newbcast:1 row_mask:0xf bank_mask:0xf// 00000000E200: 0A0A0AFA FF01519B
	v_mul_f32_dpp v6, v155, v6 row_newbcast:2 row_mask:0xf bank_mask:0xf// 00000000E208: 0A0C0CFA FF01529B
	v_mul_f32_dpp v7, v155, v7 row_newbcast:3 row_mask:0xf bank_mask:0xf// 00000000E210: 0A0E0EFA FF01539B
	v_mul_f32_dpp v8, v155, v8 row_newbcast:4 row_mask:0xf bank_mask:0xf// 00000000E218: 0A1010FA FF01549B
	v_mul_f32_dpp v9, v155, v9 row_newbcast:5 row_mask:0xf bank_mask:0xf// 00000000E220: 0A1212FA FF01559B
	v_mul_f32_dpp v10, v155, v10 row_newbcast:6 row_mask:0xf bank_mask:0xf// 00000000E228: 0A1414FA FF01569B
	v_mul_f32_dpp v11, v155, v11 row_newbcast:7 row_mask:0xf bank_mask:0xf// 00000000E230: 0A1616FA FF01579B
	v_mul_f32_dpp v12, v155, v12 row_newbcast:8 row_mask:0xf bank_mask:0xf// 00000000E238: 0A1818FA FF01589B
	v_mul_f32_dpp v13, v155, v13 row_newbcast:9 row_mask:0xf bank_mask:0xf// 00000000E240: 0A1A1AFA FF01599B
	v_mul_f32_dpp v14, v155, v14 row_newbcast:10 row_mask:0xf bank_mask:0xf// 00000000E248: 0A1C1CFA FF015A9B
	v_mul_f32_dpp v15, v155, v15 row_newbcast:11 row_mask:0xf bank_mask:0xf// 00000000E250: 0A1E1EFA FF015B9B
	v_mul_f32_dpp v16, v155, v16 row_newbcast:12 row_mask:0xf bank_mask:0xf// 00000000E258: 0A2020FA FF015C9B
	v_mul_f32_dpp v17, v155, v17 row_newbcast:13 row_mask:0xf bank_mask:0xf// 00000000E260: 0A2222FA FF015D9B
	v_mul_f32_dpp v18, v155, v18 row_newbcast:14 row_mask:0xf bank_mask:0xf// 00000000E268: 0A2424FA FF015E9B
	v_mul_f32_dpp v19, v155, v19 row_newbcast:15 row_mask:0xf bank_mask:0xf// 00000000E270: 0A2626FA FF015F9B
	v_pk_mul_f32 v[20:21], v[150:151], v[20:21]                // 00000000E278: D3B14014 18022996
	v_pk_mul_f32 v[22:23], v[150:151], v[22:23]                // 00000000E280: D3B14016 18022D96
	v_pk_mul_f32 v[24:25], v[150:151], v[24:25]                // 00000000E288: D3B14018 18023196
	v_pk_mul_f32 v[26:27], v[150:151], v[26:27]                // 00000000E290: D3B1401A 18023596
	v_pk_mul_f32 v[28:29], v[150:151], v[28:29]                // 00000000E298: D3B1401C 18023996
	v_pk_mul_f32 v[30:31], v[150:151], v[30:31]                // 00000000E2A0: D3B1401E 18023D96
	v_pk_mul_f32 v[32:33], v[150:151], v[32:33]                // 00000000E2A8: D3B14020 18024196
	v_pk_mul_f32 v[34:35], v[150:151], v[34:35]                // 00000000E2B0: D3B14022 18024596
	v_mul_f32_dpp v20, v155, v20 row_newbcast:0 row_mask:0xf bank_mask:0xf// 00000000E2B8: 0A2828FA FF01509B
	v_mul_f32_dpp v21, v155, v21 row_newbcast:1 row_mask:0xf bank_mask:0xf// 00000000E2C0: 0A2A2AFA FF01519B
	v_mul_f32_dpp v22, v155, v22 row_newbcast:2 row_mask:0xf bank_mask:0xf// 00000000E2C8: 0A2C2CFA FF01529B
	v_mul_f32_dpp v23, v155, v23 row_newbcast:3 row_mask:0xf bank_mask:0xf// 00000000E2D0: 0A2E2EFA FF01539B
	v_mul_f32_dpp v24, v155, v24 row_newbcast:4 row_mask:0xf bank_mask:0xf// 00000000E2D8: 0A3030FA FF01549B
	v_mul_f32_dpp v25, v155, v25 row_newbcast:5 row_mask:0xf bank_mask:0xf// 00000000E2E0: 0A3232FA FF01559B
	v_mul_f32_dpp v26, v155, v26 row_newbcast:6 row_mask:0xf bank_mask:0xf// 00000000E2E8: 0A3434FA FF01569B
	v_mul_f32_dpp v27, v155, v27 row_newbcast:7 row_mask:0xf bank_mask:0xf// 00000000E2F0: 0A3636FA FF01579B
	v_mul_f32_dpp v28, v155, v28 row_newbcast:8 row_mask:0xf bank_mask:0xf// 00000000E2F8: 0A3838FA FF01589B
	v_mul_f32_dpp v29, v155, v29 row_newbcast:9 row_mask:0xf bank_mask:0xf// 00000000E300: 0A3A3AFA FF01599B
	v_mul_f32_dpp v30, v155, v30 row_newbcast:10 row_mask:0xf bank_mask:0xf// 00000000E308: 0A3C3CFA FF015A9B
	v_mul_f32_dpp v31, v155, v31 row_newbcast:11 row_mask:0xf bank_mask:0xf// 00000000E310: 0A3E3EFA FF015B9B
	v_mul_f32_dpp v32, v155, v32 row_newbcast:12 row_mask:0xf bank_mask:0xf// 00000000E318: 0A4040FA FF015C9B
	v_mul_f32_dpp v33, v155, v33 row_newbcast:13 row_mask:0xf bank_mask:0xf// 00000000E320: 0A4242FA FF015D9B
	v_mul_f32_dpp v34, v155, v34 row_newbcast:14 row_mask:0xf bank_mask:0xf// 00000000E328: 0A4444FA FF015E9B
	v_mul_f32_dpp v35, v155, v35 row_newbcast:15 row_mask:0xf bank_mask:0xf// 00000000E330: 0A4646FA FF015F9B
	v_pk_mul_f32 v[36:37], v[152:153], v[36:37]                // 00000000E338: D3B14024 18024998
	v_pk_mul_f32 v[38:39], v[152:153], v[38:39]                // 00000000E340: D3B14026 18024D98
	v_pk_mul_f32 v[40:41], v[152:153], v[40:41]                // 00000000E348: D3B14028 18025198
	v_pk_mul_f32 v[42:43], v[152:153], v[42:43]                // 00000000E350: D3B1402A 18025598
	v_mul_f32_dpp v36, v164, v36 quad_perm:[0,0,0,0] row_mask:0xf bank_mask:0xf// 00000000E358: 0A4848FA FF0000A4
	v_mul_f32_dpp v37, v164, v37 quad_perm:[1,1,1,1] row_mask:0xf bank_mask:0xf// 00000000E360: 0A4A4AFA FF0055A4
	v_mul_f32_dpp v38, v164, v38 quad_perm:[2,2,2,2] row_mask:0xf bank_mask:0xf// 00000000E368: 0A4C4CFA FF00AAA4
	v_mul_f32_dpp v39, v164, v39 quad_perm:[3,3,3,3] row_mask:0xf bank_mask:0xf// 00000000E370: 0A4E4EFA FF00FFA4
	v_mul_f32_dpp v40, v165, v40 quad_perm:[0,0,0,0] row_mask:0xf bank_mask:0xf// 00000000E378: 0A5050FA FF0000A5
	v_mul_f32_dpp v41, v165, v41 quad_perm:[1,1,1,1] row_mask:0xf bank_mask:0xf// 00000000E380: 0A5252FA FF0055A5
	v_mul_f32_dpp v42, v165, v42 quad_perm:[2,2,2,2] row_mask:0xf bank_mask:0xf// 00000000E388: 0A5454FA FF00AAA5
	v_mul_f32_dpp v43, v165, v43 quad_perm:[3,3,3,3] row_mask:0xf bank_mask:0xf// 00000000E390: 0A5656FA FF00FFA5
	v_add_u32_e32 v168, s64, v222                              // 00000000E398: 6951BC40
	v_add_u32_e32 v169, 0, v168                                // 00000000E39C: 69535080
	v_cmp_lt_u32_e64 s[98:99], v169, v219                      // 00000000E3A0: D0C90062 0003B7A9
	s_nop 0                                                    // 00000000E3A8: BF800000
	v_cndmask_b32_e64 v4, v225, v4, s[98:99]                   // 00000000E3AC: D1000004 018A09E1
	v_add_u32_e32 v169, 1, v168                                // 00000000E3B4: 69535081
	v_cmp_lt_u32_e64 s[98:99], v169, v219                      // 00000000E3B8: D0C90062 0003B7A9
	s_nop 0                                                    // 00000000E3C0: BF800000
	v_cndmask_b32_e64 v5, v225, v5, s[98:99]                   // 00000000E3C4: D1000005 018A0BE1
	v_add_u32_e32 v169, 2, v168                                // 00000000E3CC: 69535082
	v_cmp_lt_u32_e64 s[98:99], v169, v219                      // 00000000E3D0: D0C90062 0003B7A9
	s_nop 0                                                    // 00000000E3D8: BF800000
	v_cndmask_b32_e64 v6, v225, v6, s[98:99]                   // 00000000E3DC: D1000006 018A0DE1
	v_add_u32_e32 v169, 3, v168                                // 00000000E3E4: 69535083
	v_cmp_lt_u32_e64 s[98:99], v169, v219                      // 00000000E3E8: D0C90062 0003B7A9
	s_nop 0                                                    // 00000000E3F0: BF800000
	v_cndmask_b32_e64 v7, v225, v7, s[98:99]                   // 00000000E3F4: D1000007 018A0FE1
	v_add_u32_e32 v169, 64, v168                               // 00000000E3FC: 695350C0
	v_cmp_lt_u32_e64 s[98:99], v169, v219                      // 00000000E400: D0C90062 0003B7A9
	s_nop 0                                                    // 00000000E408: BF800000
	v_cndmask_b32_e64 v8, v225, v8, s[98:99]                   // 00000000E40C: D1000008 018A11E1
	v_add_u32_e32 v169, 0x41, v168                             // 00000000E414: 695350FF 00000041
	v_cmp_lt_u32_e64 s[98:99], v169, v219                      // 00000000E41C: D0C90062 0003B7A9
	s_nop 0                                                    // 00000000E424: BF800000
	v_cndmask_b32_e64 v9, v225, v9, s[98:99]                   // 00000000E428: D1000009 018A13E1
	v_add_u32_e32 v169, 0x42, v168                             // 00000000E430: 695350FF 00000042
	v_cmp_lt_u32_e64 s[98:99], v169, v219                      // 00000000E438: D0C90062 0003B7A9
	s_nop 0                                                    // 00000000E440: BF800000
	v_cndmask_b32_e64 v10, v225, v10, s[98:99]                 // 00000000E444: D100000A 018A15E1
	v_add_u32_e32 v169, 0x43, v168                             // 00000000E44C: 695350FF 00000043
	v_cmp_lt_u32_e64 s[98:99], v169, v219                      // 00000000E454: D0C90062 0003B7A9
	s_nop 0                                                    // 00000000E45C: BF800000
	v_cndmask_b32_e64 v11, v225, v11, s[98:99]                 // 00000000E460: D100000B 018A17E1
	v_add_u32_e32 v169, 0x80, v168                             // 00000000E468: 695350FF 00000080
	v_cmp_lt_u32_e64 s[98:99], v169, v219                      // 00000000E470: D0C90062 0003B7A9
	s_nop 0                                                    // 00000000E478: BF800000
	v_cndmask_b32_e64 v12, v225, v12, s[98:99]                 // 00000000E47C: D100000C 018A19E1
	v_add_u32_e32 v169, 0x81, v168                             // 00000000E484: 695350FF 00000081
	v_cmp_lt_u32_e64 s[98:99], v169, v219                      // 00000000E48C: D0C90062 0003B7A9
	s_nop 0                                                    // 00000000E494: BF800000
	v_cndmask_b32_e64 v13, v225, v13, s[98:99]                 // 00000000E498: D100000D 018A1BE1
	v_add_u32_e32 v169, 0x82, v168                             // 00000000E4A0: 695350FF 00000082
	v_cmp_lt_u32_e64 s[98:99], v169, v219                      // 00000000E4A8: D0C90062 0003B7A9
	s_nop 0                                                    // 00000000E4B0: BF800000
	v_cndmask_b32_e64 v14, v225, v14, s[98:99]                 // 00000000E4B4: D100000E 018A1DE1
	v_add_u32_e32 v169, 0x83, v168                             // 00000000E4BC: 695350FF 00000083
	v_cmp_lt_u32_e64 s[98:99], v169, v219                      // 00000000E4C4: D0C90062 0003B7A9
	s_nop 0                                                    // 00000000E4CC: BF800000
	v_cndmask_b32_e64 v15, v225, v15, s[98:99]                 // 00000000E4D0: D100000F 018A1FE1
	v_add_u32_e32 v169, 0xc0, v168                             // 00000000E4D8: 695350FF 000000C0
	v_cmp_lt_u32_e64 s[98:99], v169, v219                      // 00000000E4E0: D0C90062 0003B7A9
	s_nop 0                                                    // 00000000E4E8: BF800000
	v_cndmask_b32_e64 v16, v225, v16, s[98:99]                 // 00000000E4EC: D1000010 018A21E1
	v_add_u32_e32 v169, 0xc1, v168                             // 00000000E4F4: 695350FF 000000C1
	v_cmp_lt_u32_e64 s[98:99], v169, v219                      // 00000000E4FC: D0C90062 0003B7A9
	s_nop 0                                                    // 00000000E504: BF800000
	v_cndmask_b32_e64 v17, v225, v17, s[98:99]                 // 00000000E508: D1000011 018A23E1
	v_add_u32_e32 v169, 0xc2, v168                             // 00000000E510: 695350FF 000000C2
	v_cmp_lt_u32_e64 s[98:99], v169, v219                      // 00000000E518: D0C90062 0003B7A9
	s_nop 0                                                    // 00000000E520: BF800000
	v_cndmask_b32_e64 v18, v225, v18, s[98:99]                 // 00000000E524: D1000012 018A25E1
	v_add_u32_e32 v169, 0xc3, v168                             // 00000000E52C: 695350FF 000000C3
	v_cmp_lt_u32_e64 s[98:99], v169, v219                      // 00000000E534: D0C90062 0003B7A9
	s_nop 0                                                    // 00000000E53C: BF800000
	v_cndmask_b32_e64 v19, v225, v19, s[98:99]                 // 00000000E540: D1000013 018A27E1
	v_add_u32_e32 v169, 0, v168                                // 00000000E548: 69535080
	v_cmp_lt_u32_e64 s[98:99], v169, v220                      // 00000000E54C: D0C90062 0003B9A9
	s_nop 0                                                    // 00000000E554: BF800000
	v_cndmask_b32_e64 v20, v225, v20, s[98:99]                 // 00000000E558: D1000014 018A29E1
	v_add_u32_e32 v169, 1, v168                                // 00000000E560: 69535081
	v_cmp_lt_u32_e64 s[98:99], v169, v220                      // 00000000E564: D0C90062 0003B9A9
	s_nop 0                                                    // 00000000E56C: BF800000
	v_cndmask_b32_e64 v21, v225, v21, s[98:99]                 // 00000000E570: D1000015 018A2BE1
	v_add_u32_e32 v169, 2, v168                                // 00000000E578: 69535082
	v_cmp_lt_u32_e64 s[98:99], v169, v220                      // 00000000E57C: D0C90062 0003B9A9
	s_nop 0                                                    // 00000000E584: BF800000
	v_cndmask_b32_e64 v22, v225, v22, s[98:99]                 // 00000000E588: D1000016 018A2DE1
	v_add_u32_e32 v169, 3, v168                                // 00000000E590: 69535083
	v_cmp_lt_u32_e64 s[98:99], v169, v220                      // 00000000E594: D0C90062 0003B9A9
	s_nop 0                                                    // 00000000E59C: BF800000
	v_cndmask_b32_e64 v23, v225, v23, s[98:99]                 // 00000000E5A0: D1000017 018A2FE1
	v_add_u32_e32 v169, 64, v168                               // 00000000E5A8: 695350C0
	v_cmp_lt_u32_e64 s[98:99], v169, v220                      // 00000000E5AC: D0C90062 0003B9A9
	s_nop 0                                                    // 00000000E5B4: BF800000
	v_cndmask_b32_e64 v24, v225, v24, s[98:99]                 // 00000000E5B8: D1000018 018A31E1
	v_add_u32_e32 v169, 0x41, v168                             // 00000000E5C0: 695350FF 00000041
	v_cmp_lt_u32_e64 s[98:99], v169, v220                      // 00000000E5C8: D0C90062 0003B9A9
	s_nop 0                                                    // 00000000E5D0: BF800000
	v_cndmask_b32_e64 v25, v225, v25, s[98:99]                 // 00000000E5D4: D1000019 018A33E1
	v_add_u32_e32 v169, 0x42, v168                             // 00000000E5DC: 695350FF 00000042
	v_cmp_lt_u32_e64 s[98:99], v169, v220                      // 00000000E5E4: D0C90062 0003B9A9
	s_nop 0                                                    // 00000000E5EC: BF800000
	v_cndmask_b32_e64 v26, v225, v26, s[98:99]                 // 00000000E5F0: D100001A 018A35E1
	v_add_u32_e32 v169, 0x43, v168                             // 00000000E5F8: 695350FF 00000043
	v_cmp_lt_u32_e64 s[98:99], v169, v220                      // 00000000E600: D0C90062 0003B9A9
	s_nop 0                                                    // 00000000E608: BF800000
	v_cndmask_b32_e64 v27, v225, v27, s[98:99]                 // 00000000E60C: D100001B 018A37E1
	v_add_u32_e32 v169, 0x80, v168                             // 00000000E614: 695350FF 00000080
	v_cmp_lt_u32_e64 s[98:99], v169, v220                      // 00000000E61C: D0C90062 0003B9A9
	s_nop 0                                                    // 00000000E624: BF800000
	v_cndmask_b32_e64 v28, v225, v28, s[98:99]                 // 00000000E628: D100001C 018A39E1
	v_add_u32_e32 v169, 0x81, v168                             // 00000000E630: 695350FF 00000081
	v_cmp_lt_u32_e64 s[98:99], v169, v220                      // 00000000E638: D0C90062 0003B9A9
	s_nop 0                                                    // 00000000E640: BF800000
	v_cndmask_b32_e64 v29, v225, v29, s[98:99]                 // 00000000E644: D100001D 018A3BE1
	v_add_u32_e32 v169, 0x82, v168                             // 00000000E64C: 695350FF 00000082
	v_cmp_lt_u32_e64 s[98:99], v169, v220                      // 00000000E654: D0C90062 0003B9A9
	s_nop 0                                                    // 00000000E65C: BF800000
	v_cndmask_b32_e64 v30, v225, v30, s[98:99]                 // 00000000E660: D100001E 018A3DE1
	v_add_u32_e32 v169, 0x83, v168                             // 00000000E668: 695350FF 00000083
	v_cmp_lt_u32_e64 s[98:99], v169, v220                      // 00000000E670: D0C90062 0003B9A9
	s_nop 0                                                    // 00000000E678: BF800000
	v_cndmask_b32_e64 v31, v225, v31, s[98:99]                 // 00000000E67C: D100001F 018A3FE1
	v_add_u32_e32 v169, 0xc0, v168                             // 00000000E684: 695350FF 000000C0
	v_cmp_lt_u32_e64 s[98:99], v169, v220                      // 00000000E68C: D0C90062 0003B9A9
	s_nop 0                                                    // 00000000E694: BF800000
	v_cndmask_b32_e64 v32, v225, v32, s[98:99]                 // 00000000E698: D1000020 018A41E1
	v_add_u32_e32 v169, 0xc1, v168                             // 00000000E6A0: 695350FF 000000C1
	v_cmp_lt_u32_e64 s[98:99], v169, v220                      // 00000000E6A8: D0C90062 0003B9A9
	s_nop 0                                                    // 00000000E6B0: BF800000
	v_cndmask_b32_e64 v33, v225, v33, s[98:99]                 // 00000000E6B4: D1000021 018A43E1
	v_add_u32_e32 v169, 0xc2, v168                             // 00000000E6BC: 695350FF 000000C2
	v_cmp_lt_u32_e64 s[98:99], v169, v220                      // 00000000E6C4: D0C90062 0003B9A9
	s_nop 0                                                    // 00000000E6CC: BF800000
	v_cndmask_b32_e64 v34, v225, v34, s[98:99]                 // 00000000E6D0: D1000022 018A45E1
	v_add_u32_e32 v169, 0xc3, v168                             // 00000000E6D8: 695350FF 000000C3
	v_cmp_lt_u32_e64 s[98:99], v169, v220                      // 00000000E6E0: D0C90062 0003B9A9
	s_nop 0                                                    // 00000000E6E8: BF800000
	v_cndmask_b32_e64 v35, v225, v35, s[98:99]                 // 00000000E6EC: D1000023 018A47E1
	v_add_u32_e32 v168, s64, v223                              // 00000000E6F4: 6951BE40
	v_add_u32_e32 v169, 0, v168                                // 00000000E6F8: 69535080
	v_cmp_lt_u32_e64 s[98:99], v169, v221                      // 00000000E6FC: D0C90062 0003BBA9
	s_nop 0                                                    // 00000000E704: BF800000
	v_cndmask_b32_e64 v36, v225, v36, s[98:99]                 // 00000000E708: D1000024 018A49E1
	v_add_u32_e32 v169, 1, v168                                // 00000000E710: 69535081
	v_cmp_lt_u32_e64 s[98:99], v169, v221                      // 00000000E714: D0C90062 0003BBA9
	s_nop 0                                                    // 00000000E71C: BF800000
	v_cndmask_b32_e64 v37, v225, v37, s[98:99]                 // 00000000E720: D1000025 018A4BE1
	v_add_u32_e32 v169, 2, v168                                // 00000000E728: 69535082
	v_cmp_lt_u32_e64 s[98:99], v169, v221                      // 00000000E72C: D0C90062 0003BBA9
	s_nop 0                                                    // 00000000E734: BF800000
	v_cndmask_b32_e64 v38, v225, v38, s[98:99]                 // 00000000E738: D1000026 018A4DE1
	v_add_u32_e32 v169, 3, v168                                // 00000000E740: 69535083
	v_cmp_lt_u32_e64 s[98:99], v169, v221                      // 00000000E744: D0C90062 0003BBA9
	s_nop 0                                                    // 00000000E74C: BF800000
	v_cndmask_b32_e64 v39, v225, v39, s[98:99]                 // 00000000E750: D1000027 018A4FE1
	v_add_u32_e32 v169, 64, v168                               // 00000000E758: 695350C0
	v_cmp_lt_u32_e64 s[98:99], v169, v221                      // 00000000E75C: D0C90062 0003BBA9
	s_nop 0                                                    // 00000000E764: BF800000
	v_cndmask_b32_e64 v40, v225, v40, s[98:99]                 // 00000000E768: D1000028 018A51E1
	v_add_u32_e32 v169, 0x41, v168                             // 00000000E770: 695350FF 00000041
	v_cmp_lt_u32_e64 s[98:99], v169, v221                      // 00000000E778: D0C90062 0003BBA9
	s_nop 0                                                    // 00000000E780: BF800000
	v_cndmask_b32_e64 v41, v225, v41, s[98:99]                 // 00000000E784: D1000029 018A53E1
	v_add_u32_e32 v169, 0x42, v168                             // 00000000E78C: 695350FF 00000042
	v_cmp_lt_u32_e64 s[98:99], v169, v221                      // 00000000E794: D0C90062 0003BBA9
	s_nop 0                                                    // 00000000E79C: BF800000
	v_cndmask_b32_e64 v42, v225, v42, s[98:99]                 // 00000000E7A0: D100002A 018A55E1
	v_add_u32_e32 v169, 0x43, v168                             // 00000000E7A8: 695350FF 00000043
	v_cmp_lt_u32_e64 s[98:99], v169, v221                      // 00000000E7B0: D0C90062 0003BBA9
	s_nop 0                                                    // 00000000E7B8: BF800000
	v_cndmask_b32_e64 v43, v225, v43, s[98:99]                 // 00000000E7BC: D100002B 018A57E1
	v_mov_b32_e32 v190, v36                                    // 00000000E7C4: 7F7C0324
	v_max3_f32 v190, v36, v37, v190                            // 00000000E7C8: D1D300BE 06FA4B24
	v_max3_f32 v190, v38, v39, v190                            // 00000000E7D0: D1D300BE 06FA4F26
	v_max3_f32 v190, v40, v41, v190                            // 00000000E7D8: D1D300BE 06FA5328
	v_max3_f32 v190, v42, v43, v190                            // 00000000E7E0: D1D300BE 06FA572A
	v_mov_b32_e32 v189, v20                                    // 00000000E7E8: 7F7A0314
	v_max3_f32 v189, v20, v21, v189                            // 00000000E7EC: D1D300BD 06F62B14
	v_max3_f32 v189, v22, v23, v189                            // 00000000E7F4: D1D300BD 06F62F16
	v_max3_f32 v189, v24, v25, v189                            // 00000000E7FC: D1D300BD 06F63318
	v_max3_f32 v189, v26, v27, v189                            // 00000000E804: D1D300BD 06F6371A
	v_max3_f32 v189, v28, v29, v189                            // 00000000E80C: D1D300BD 06F63B1C
	v_max3_f32 v189, v30, v31, v189                            // 00000000E814: D1D300BD 06F63F1E
	v_max3_f32 v189, v32, v33, v189                            // 00000000E81C: D1D300BD 06F64320
	v_max3_f32 v189, v34, v35, v189                            // 00000000E824: D1D300BD 06F64722
	v_mov_b32_e32 v188, v4                                     // 00000000E82C: 7F780304
	v_max3_f32 v188, v4, v5, v188                              // 00000000E830: D1D300BC 06F20B04
	v_max3_f32 v188, v6, v7, v188                              // 00000000E838: D1D300BC 06F20F06
	v_max3_f32 v188, v8, v9, v188                              // 00000000E840: D1D300BC 06F21308
	v_max3_f32 v188, v10, v11, v188                            // 00000000E848: D1D300BC 06F2170A
	v_max3_f32 v188, v12, v13, v188                            // 00000000E850: D1D300BC 06F21B0C
	v_max3_f32 v188, v14, v15, v188                            // 00000000E858: D1D300BC 06F21F0E
	v_max3_f32 v188, v16, v17, v188                            // 00000000E860: D1D300BC 06F22310
	v_max3_f32 v188, v18, v19, v188                            // 00000000E868: D1D300BC 06F22712
	v_max_f32_dpp v190, v190, v190 row_ror:8 row_mask:0xf bank_mask:0xf// 00000000E870: 177D7CFA FF0128BE
	ds_bpermute_b32 v172, v212, v188                           // 00000000E878: D87E0000 AC00BCD4
	ds_bpermute_b32 v173, v213, v188                           // 00000000E880: D87E0000 AD00BCD5
	ds_bpermute_b32 v174, v214, v188                           // 00000000E888: D87E0000 AE00BCD6
	ds_bpermute_b32 v175, v212, v189                           // 00000000E890: D87E0000 AF00BDD4
	ds_bpermute_b32 v176, v213, v189                           // 00000000E898: D87E0000 B000BDD5
	ds_bpermute_b32 v177, v214, v189                           // 00000000E8A0: D87E0000 B100BDD6
	ds_bpermute_b32 v178, v212, v190                           // 00000000E8A8: D87E0000 B200BED4
	ds_bpermute_b32 v179, v213, v190                           // 00000000E8B0: D87E0000 B300BED5
	ds_bpermute_b32 v180, v214, v190                           // 00000000E8B8: D87E0000 B400BED6
	v_pk_mul_f32 v[124:125], v[200:201], v[124:125]            // 00000000E8C0: D3B1407C 1802F9C8
	v_pk_mul_f32 v[126:127], v[200:201], v[126:127]            // 00000000E8C8: D3B1407E 1802FDC8
	v_pk_mul_f32 v[128:129], v[200:201], v[128:129]            // 00000000E8D0: D3B14080 180301C8
	v_pk_mul_f32 v[130:131], v[200:201], v[130:131]            // 00000000E8D8: D3B14082 180305C8
	v_pk_mul_f32 v[132:133], v[202:203], v[132:133]            // 00000000E8E0: D3B14084 180309CA
	v_pk_mul_f32 v[134:135], v[202:203], v[134:135]            // 00000000E8E8: D3B14086 18030DCA
	v_pk_mul_f32 v[136:137], v[202:203], v[136:137]            // 00000000E8F0: D3B14088 180311CA
	v_pk_mul_f32 v[138:139], v[202:203], v[138:139]            // 00000000E8F8: D3B1408A 180315CA
	v_pk_mul_f32 v[140:141], v[204:205], v[140:141]            // 00000000E900: D3B1408C 180319CC
	v_pk_mul_f32 v[142:143], v[204:205], v[142:143]            // 00000000E908: D3B1408E 18031DCC
	v_pk_mul_f32 v[144:145], v[204:205], v[144:145]            // 00000000E910: D3B14090 180321CC
	v_pk_mul_f32 v[146:147], v[204:205], v[146:147]            // 00000000E918: D3B14092 180325CC
	s_waitcnt lgkmcnt(6)                                       // 00000000E920: BF8CC67F
	v_max3_f32 v188, v172, v173, v188                          // 00000000E924: D1D300BC 06F35BAC
	v_max_f32_e32 v188, v174, v188                             // 00000000E92C: 177979AE
	s_waitcnt lgkmcnt(3)                                       // 00000000E930: BF8CC37F
	v_max3_f32 v189, v175, v176, v189                          // 00000000E934: D1D300BD 06F761AF
	v_max_f32_e32 v189, v177, v189                             // 00000000E93C: 177B7BB1
	s_waitcnt lgkmcnt(0)                                       // 00000000E940: BF8CC07F
	v_max3_f32 v190, v178, v179, v190                          // 00000000E944: D1D300BE 06FB67B2
	v_max_f32_e32 v190, v180, v190                             // 00000000E94C: 177D7DB4
	ds_write_b128 v252, v[188:191]                             // 00000000E950: D9BE0000 0000BCFC
	s_waitcnt lgkmcnt(0)                                       // 00000000E958: BF8CC07F
	s_barrier                                                  // 00000000E95C: BF8A0000
	ds_read_b128 v[172:175], v253                              // 00000000E960: D9FE0000 AC0000FD
	ds_read_b128 v[176:179], v253 offset:256                   // 00000000E968: D9FE0100 B00000FD
	ds_read_b128 v[180:183], v253 offset:512                   // 00000000E970: D9FE0200 B40000FD
	ds_read_b128 v[184:187], v253 offset:768                   // 00000000E978: D9FE0300 B80000FD
	v_pk_mul_f32 v[100:101], v[158:159], v[100:101]            // 00000000E980: D3B14064 1802C99E
	v_pk_mul_f32 v[102:103], v[158:159], v[102:103]            // 00000000E988: D3B14066 1802CD9E
	v_pk_mul_f32 v[104:105], v[158:159], v[104:105]            // 00000000E990: D3B14068 1802D19E
	v_pk_mul_f32 v[106:107], v[158:159], v[106:107]            // 00000000E998: D3B1406A 1802D59E
	v_pk_mul_f32 v[108:109], v[160:161], v[108:109]            // 00000000E9A0: D3B1406C 1802D9A0
	v_pk_mul_f32 v[110:111], v[160:161], v[110:111]            // 00000000E9A8: D3B1406E 1802DDA0
	v_pk_mul_f32 v[112:113], v[160:161], v[112:113]            // 00000000E9B0: D3B14070 1802E1A0
	v_pk_mul_f32 v[114:115], v[160:161], v[114:115]            // 00000000E9B8: D3B14072 1802E5A0
	v_pk_mul_f32 v[116:117], v[162:163], v[116:117]            // 00000000E9C0: D3B14074 1802E9A2
	v_pk_mul_f32 v[118:119], v[162:163], v[118:119]            // 00000000E9C8: D3B14076 1802EDA2
	v_pk_mul_f32 v[120:121], v[162:163], v[120:121]            // 00000000E9D0: D3B14078 1802F1A2
	v_pk_mul_f32 v[122:123], v[162:163], v[122:123]            // 00000000E9D8: D3B1407A 1802F5A2
	s_waitcnt lgkmcnt(0)                                       // 00000000E9E0: BF8CC07F
	v_max3_f32 v188, v172, v176, v188                          // 00000000E9E4: D1D300BC 06F361AC
	v_max3_f32 v189, v173, v177, v189                          // 00000000E9EC: D1D300BD 06F763AD
	v_max3_f32 v190, v174, v178, v190                          // 00000000E9F4: D1D300BE 06FB65AE
	v_max3_f32 v188, v180, v184, v188                          // 00000000E9FC: D1D300BC 06F371B4
	v_max3_f32 v189, v181, v185, v189                          // 00000000EA04: D1D300BD 06F773B5
	v_max3_f32 v190, v182, v186, v190                          // 00000000EA0C: D1D300BE 06FB75B6
	v_max_f32_e32 v197, v188, v194                             // 00000000EA14: 178B85BC
	v_mul_f32_e64 v168, -s46, v197                             // 00000000EA18: D10500A8 20038A2E
	v_mov_b32_e32 v169, v168                                   // 00000000EA20: 7F5203A8
	v_pk_fma_f32 v[4:5], v[4:5], s[46:47], v[168:169]          // 00000000EA24: D3B04004 1EA05D04
	v_pk_fma_f32 v[6:7], v[6:7], s[46:47], v[168:169]          // 00000000EA2C: D3B04006 1EA05D06
	v_exp_f32_e32 v4, v4                                       // 00000000EA34: 7E084104
	v_exp_f32_e32 v5, v5                                       // 00000000EA38: 7E0A4105
	v_exp_f32_e32 v6, v6                                       // 00000000EA3C: 7E0C4106
	v_exp_f32_e32 v7, v7                                       // 00000000EA40: 7E0E4107
	v_pk_fma_f32 v[8:9], v[8:9], s[46:47], v[168:169]          // 00000000EA44: D3B04008 1EA05D08
	v_pk_fma_f32 v[10:11], v[10:11], s[46:47], v[168:169]      // 00000000EA4C: D3B0400A 1EA05D0A
	v_exp_f32_e32 v8, v8                                       // 00000000EA54: 7E104108
	v_exp_f32_e32 v9, v9                                       // 00000000EA58: 7E124109
	v_exp_f32_e32 v10, v10                                     // 00000000EA5C: 7E14410A
	v_exp_f32_e32 v11, v11                                     // 00000000EA60: 7E16410B
	v_pk_fma_f32 v[12:13], v[12:13], s[46:47], v[168:169]      // 00000000EA64: D3B0400C 1EA05D0C
	v_pk_fma_f32 v[14:15], v[14:15], s[46:47], v[168:169]      // 00000000EA6C: D3B0400E 1EA05D0E
	v_exp_f32_e32 v12, v12                                     // 00000000EA74: 7E18410C
	v_exp_f32_e32 v13, v13                                     // 00000000EA78: 7E1A410D
	v_exp_f32_e32 v14, v14                                     // 00000000EA7C: 7E1C410E
	v_exp_f32_e32 v15, v15                                     // 00000000EA80: 7E1E410F
	v_pk_fma_f32 v[16:17], v[16:17], s[46:47], v[168:169]      // 00000000EA84: D3B04010 1EA05D10
	v_pk_fma_f32 v[18:19], v[18:19], s[46:47], v[168:169]      // 00000000EA8C: D3B04012 1EA05D12
	v_exp_f32_e32 v16, v16                                     // 00000000EA94: 7E204110
	v_exp_f32_e32 v17, v17                                     // 00000000EA98: 7E224111
	v_exp_f32_e32 v18, v18                                     // 00000000EA9C: 7E244112
	v_exp_f32_e32 v19, v19                                     // 00000000EAA0: 7E264113
	v_max_f32_e32 v198, v189, v195                             // 00000000EAA4: 178D87BD
	v_mul_f32_e64 v168, -s46, v198                             // 00000000EAA8: D10500A8 20038C2E
	v_mov_b32_e32 v169, v168                                   // 00000000EAB0: 7F5203A8
	v_pk_fma_f32 v[20:21], v[20:21], s[46:47], v[168:169]      // 00000000EAB4: D3B04014 1EA05D14
	v_pk_fma_f32 v[22:23], v[22:23], s[46:47], v[168:169]      // 00000000EABC: D3B04016 1EA05D16
	v_exp_f32_e32 v20, v20                                     // 00000000EAC4: 7E284114
	v_exp_f32_e32 v21, v21                                     // 00000000EAC8: 7E2A4115
	v_exp_f32_e32 v22, v22                                     // 00000000EACC: 7E2C4116
	v_exp_f32_e32 v23, v23                                     // 00000000EAD0: 7E2E4117
	v_pk_fma_f32 v[24:25], v[24:25], s[46:47], v[168:169]      // 00000000EAD4: D3B04018 1EA05D18
	v_pk_fma_f32 v[26:27], v[26:27], s[46:47], v[168:169]      // 00000000EADC: D3B0401A 1EA05D1A
	v_exp_f32_e32 v24, v24                                     // 00000000EAE4: 7E304118
	v_exp_f32_e32 v25, v25                                     // 00000000EAE8: 7E324119
	v_exp_f32_e32 v26, v26                                     // 00000000EAEC: 7E34411A
	v_exp_f32_e32 v27, v27                                     // 00000000EAF0: 7E36411B
	v_pk_fma_f32 v[28:29], v[28:29], s[46:47], v[168:169]      // 00000000EAF4: D3B0401C 1EA05D1C
	v_pk_fma_f32 v[30:31], v[30:31], s[46:47], v[168:169]      // 00000000EAFC: D3B0401E 1EA05D1E
	v_exp_f32_e32 v28, v28                                     // 00000000EB04: 7E38411C
	v_exp_f32_e32 v29, v29                                     // 00000000EB08: 7E3A411D
	v_exp_f32_e32 v30, v30                                     // 00000000EB0C: 7E3C411E
	v_exp_f32_e32 v31, v31                                     // 00000000EB10: 7E3E411F
	v_pk_fma_f32 v[32:33], v[32:33], s[46:47], v[168:169]      // 00000000EB14: D3B04020 1EA05D20
	v_pk_fma_f32 v[34:35], v[34:35], s[46:47], v[168:169]      // 00000000EB1C: D3B04022 1EA05D22
	v_exp_f32_e32 v32, v32                                     // 00000000EB24: 7E404120
	v_exp_f32_e32 v33, v33                                     // 00000000EB28: 7E424121
	v_exp_f32_e32 v34, v34                                     // 00000000EB2C: 7E444122
	v_exp_f32_e32 v35, v35                                     // 00000000EB30: 7E464123
	v_max_f32_e32 v199, v190, v196                             // 00000000EB34: 178F89BE
	v_mul_f32_e64 v168, -s46, v199                             // 00000000EB38: D10500A8 20038E2E
	v_mov_b32_e32 v169, v168                                   // 00000000EB40: 7F5203A8
	v_pk_fma_f32 v[36:37], v[36:37], s[46:47], v[168:169]      // 00000000EB44: D3B04024 1EA05D24
	v_pk_fma_f32 v[38:39], v[38:39], s[46:47], v[168:169]      // 00000000EB4C: D3B04026 1EA05D26
	v_exp_f32_e32 v36, v36                                     // 00000000EB54: 7E484124
	v_exp_f32_e32 v37, v37                                     // 00000000EB58: 7E4A4125
	v_exp_f32_e32 v38, v38                                     // 00000000EB5C: 7E4C4126
	v_exp_f32_e32 v39, v39                                     // 00000000EB60: 7E4E4127
	v_pk_fma_f32 v[40:41], v[40:41], s[46:47], v[168:169]      // 00000000EB64: D3B04028 1EA05D28
	v_pk_fma_f32 v[42:43], v[42:43], s[46:47], v[168:169]      // 00000000EB6C: D3B0402A 1EA05D2A
	v_exp_f32_e32 v40, v40                                     // 00000000EB74: 7E504128
	v_exp_f32_e32 v41, v41                                     // 00000000EB78: 7E524129
	v_exp_f32_e32 v42, v42                                     // 00000000EB7C: 7E54412A
	v_exp_f32_e32 v43, v43                                     // 00000000EB80: 7E56412B
	v_mul_f32_dpp v52, v157, v4 row_newbcast:0 row_mask:0xf bank_mask:0xf// 00000000EB84: 0A6808FA FF01509D
	v_mul_f32_dpp v53, v157, v5 row_newbcast:1 row_mask:0xf bank_mask:0xf// 00000000EB8C: 0A6A0AFA FF01519D
	v_mul_f32_dpp v54, v157, v6 row_newbcast:2 row_mask:0xf bank_mask:0xf// 00000000EB94: 0A6C0CFA FF01529D
	v_mul_f32_dpp v55, v157, v7 row_newbcast:3 row_mask:0xf bank_mask:0xf// 00000000EB9C: 0A6E0EFA FF01539D
	v_mul_f32_dpp v56, v157, v8 row_newbcast:4 row_mask:0xf bank_mask:0xf// 00000000EBA4: 0A7010FA FF01549D
	v_mul_f32_dpp v57, v157, v9 row_newbcast:5 row_mask:0xf bank_mask:0xf// 00000000EBAC: 0A7212FA FF01559D
	v_mul_f32_dpp v58, v157, v10 row_newbcast:6 row_mask:0xf bank_mask:0xf// 00000000EBB4: 0A7414FA FF01569D
	v_mul_f32_dpp v59, v157, v11 row_newbcast:7 row_mask:0xf bank_mask:0xf// 00000000EBBC: 0A7616FA FF01579D
	v_mul_f32_dpp v60, v157, v12 row_newbcast:8 row_mask:0xf bank_mask:0xf// 00000000EBC4: 0A7818FA FF01589D
	v_mul_f32_dpp v61, v157, v13 row_newbcast:9 row_mask:0xf bank_mask:0xf// 00000000EBCC: 0A7A1AFA FF01599D
	v_mul_f32_dpp v62, v157, v14 row_newbcast:10 row_mask:0xf bank_mask:0xf// 00000000EBD4: 0A7C1CFA FF015A9D
	v_mul_f32_dpp v63, v157, v15 row_newbcast:11 row_mask:0xf bank_mask:0xf// 00000000EBDC: 0A7E1EFA FF015B9D
	v_mul_f32_dpp v64, v157, v16 row_newbcast:12 row_mask:0xf bank_mask:0xf// 00000000EBE4: 0A8020FA FF015C9D
	v_mul_f32_dpp v65, v157, v17 row_newbcast:13 row_mask:0xf bank_mask:0xf// 00000000EBEC: 0A8222FA FF015D9D
	v_mul_f32_dpp v66, v157, v18 row_newbcast:14 row_mask:0xf bank_mask:0xf// 00000000EBF4: 0A8424FA FF015E9D
	v_mul_f32_dpp v67, v157, v19 row_newbcast:15 row_mask:0xf bank_mask:0xf// 00000000EBFC: 0A8626FA FF015F9D
	v_mul_f32_dpp v68, v157, v20 row_newbcast:0 row_mask:0xf bank_mask:0xf// 00000000EC04: 0A8828FA FF01509D
	v_mul_f32_dpp v69, v157, v21 row_newbcast:1 row_mask:0xf bank_mask:0xf// 00000000EC0C: 0A8A2AFA FF01519D
	v_mul_f32_dpp v70, v157, v22 row_newbcast:2 row_mask:0xf bank_mask:0xf// 00000000EC14: 0A8C2CFA FF01529D
	v_mul_f32_dpp v71, v157, v23 row_newbcast:3 row_mask:0xf bank_mask:0xf// 00000000EC1C: 0A8E2EFA FF01539D
	v_mul_f32_dpp v72, v157, v24 row_newbcast:4 row_mask:0xf bank_mask:0xf// 00000000EC24: 0A9030FA FF01549D
	v_mul_f32_dpp v73, v157, v25 row_newbcast:5 row_mask:0xf bank_mask:0xf// 00000000EC2C: 0A9232FA FF01559D
	v_mul_f32_dpp v74, v157, v26 row_newbcast:6 row_mask:0xf bank_mask:0xf// 00000000EC34: 0A9434FA FF01569D
	v_mul_f32_dpp v75, v157, v27 row_newbcast:7 row_mask:0xf bank_mask:0xf// 00000000EC3C: 0A9636FA FF01579D
	v_mul_f32_dpp v76, v157, v28 row_newbcast:8 row_mask:0xf bank_mask:0xf// 00000000EC44: 0A9838FA FF01589D
	v_mul_f32_dpp v77, v157, v29 row_newbcast:9 row_mask:0xf bank_mask:0xf// 00000000EC4C: 0A9A3AFA FF01599D
	v_mul_f32_dpp v78, v157, v30 row_newbcast:10 row_mask:0xf bank_mask:0xf// 00000000EC54: 0A9C3CFA FF015A9D
	v_mul_f32_dpp v79, v157, v31 row_newbcast:11 row_mask:0xf bank_mask:0xf// 00000000EC5C: 0A9E3EFA FF015B9D
	v_mul_f32_dpp v80, v157, v32 row_newbcast:12 row_mask:0xf bank_mask:0xf// 00000000EC64: 0AA040FA FF015C9D
	v_mul_f32_dpp v81, v157, v33 row_newbcast:13 row_mask:0xf bank_mask:0xf// 00000000EC6C: 0AA242FA FF015D9D
	v_mul_f32_dpp v82, v157, v34 row_newbcast:14 row_mask:0xf bank_mask:0xf// 00000000EC74: 0AA444FA FF015E9D
	v_mul_f32_dpp v83, v157, v35 row_newbcast:15 row_mask:0xf bank_mask:0xf// 00000000EC7C: 0AA646FA FF015F9D
	v_mul_f32_dpp v84, v166, v36 quad_perm:[0,0,0,0] row_mask:0xf bank_mask:0xf// 00000000EC84: 0AA848FA FF0000A6
	v_mul_f32_dpp v85, v166, v37 quad_perm:[1,1,1,1] row_mask:0xf bank_mask:0xf// 00000000EC8C: 0AAA4AFA FF0055A6
	v_mul_f32_dpp v86, v166, v38 quad_perm:[2,2,2,2] row_mask:0xf bank_mask:0xf// 00000000EC94: 0AAC4CFA FF00AAA6
	v_mul_f32_dpp v87, v166, v39 quad_perm:[3,3,3,3] row_mask:0xf bank_mask:0xf// 00000000EC9C: 0AAE4EFA FF00FFA6
	v_mul_f32_dpp v88, v167, v40 quad_perm:[0,0,0,0] row_mask:0xf bank_mask:0xf// 00000000ECA4: 0AB050FA FF0000A7
	v_mul_f32_dpp v89, v167, v41 quad_perm:[1,1,1,1] row_mask:0xf bank_mask:0xf// 00000000ECAC: 0AB252FA FF0055A7
	v_mul_f32_dpp v90, v167, v42 quad_perm:[2,2,2,2] row_mask:0xf bank_mask:0xf// 00000000ECB4: 0AB454FA FF00AAA7
	v_mul_f32_dpp v91, v167, v43 quad_perm:[3,3,3,3] row_mask:0xf bank_mask:0xf// 00000000ECBC: 0AB656FA FF00FFA7
	v_add_u32_e32 v168, s64, v222                              // 00000000ECC4: 6951BC40
	v_add_u32_e32 v169, 0, v168                                // 00000000ECC8: 69535080
	v_cmp_lt_u32_e32 vcc, v169, v219                           // 00000000ECCC: 7D93B7A9
	s_nop 0                                                    // 00000000ECD0: BF800000
	v_cndmask_b32_e32 v52, 0, v52, vcc                         // 00000000ECD4: 00686880
	v_add_u32_e32 v169, 1, v168                                // 00000000ECD8: 69535081
	v_cmp_lt_u32_e32 vcc, v169, v219                           // 00000000ECDC: 7D93B7A9
	s_nop 0                                                    // 00000000ECE0: BF800000
	v_cndmask_b32_e32 v53, 0, v53, vcc                         // 00000000ECE4: 006A6A80
	v_add_u32_e32 v169, 2, v168                                // 00000000ECE8: 69535082
	v_cmp_lt_u32_e32 vcc, v169, v219                           // 00000000ECEC: 7D93B7A9
	s_nop 0                                                    // 00000000ECF0: BF800000
	v_cndmask_b32_e32 v54, 0, v54, vcc                         // 00000000ECF4: 006C6C80
	v_add_u32_e32 v169, 3, v168                                // 00000000ECF8: 69535083
	v_cmp_lt_u32_e32 vcc, v169, v219                           // 00000000ECFC: 7D93B7A9
	s_nop 0                                                    // 00000000ED00: BF800000
	v_cndmask_b32_e32 v55, 0, v55, vcc                         // 00000000ED04: 006E6E80
	v_add_u32_e32 v169, 64, v168                               // 00000000ED08: 695350C0
	v_cmp_lt_u32_e32 vcc, v169, v219                           // 00000000ED0C: 7D93B7A9
	s_nop 0                                                    // 00000000ED10: BF800000
	v_cndmask_b32_e32 v56, 0, v56, vcc                         // 00000000ED14: 00707080
	v_add_u32_e32 v169, 0x41, v168                             // 00000000ED18: 695350FF 00000041
	v_cmp_lt_u32_e32 vcc, v169, v219                           // 00000000ED20: 7D93B7A9
	s_nop 0                                                    // 00000000ED24: BF800000
	v_cndmask_b32_e32 v57, 0, v57, vcc                         // 00000000ED28: 00727280
	v_add_u32_e32 v169, 0x42, v168                             // 00000000ED2C: 695350FF 00000042
	v_cmp_lt_u32_e32 vcc, v169, v219                           // 00000000ED34: 7D93B7A9
	s_nop 0                                                    // 00000000ED38: BF800000
	v_cndmask_b32_e32 v58, 0, v58, vcc                         // 00000000ED3C: 00747480
	v_add_u32_e32 v169, 0x43, v168                             // 00000000ED40: 695350FF 00000043
	v_cmp_lt_u32_e32 vcc, v169, v219                           // 00000000ED48: 7D93B7A9
	s_nop 0                                                    // 00000000ED4C: BF800000
	v_cndmask_b32_e32 v59, 0, v59, vcc                         // 00000000ED50: 00767680
	v_add_u32_e32 v169, 0x80, v168                             // 00000000ED54: 695350FF 00000080
	v_cmp_lt_u32_e32 vcc, v169, v219                           // 00000000ED5C: 7D93B7A9
	s_nop 0                                                    // 00000000ED60: BF800000
	v_cndmask_b32_e32 v60, 0, v60, vcc                         // 00000000ED64: 00787880
	v_add_u32_e32 v169, 0x81, v168                             // 00000000ED68: 695350FF 00000081
	v_cmp_lt_u32_e32 vcc, v169, v219                           // 00000000ED70: 7D93B7A9
	s_nop 0                                                    // 00000000ED74: BF800000
	v_cndmask_b32_e32 v61, 0, v61, vcc                         // 00000000ED78: 007A7A80
	v_add_u32_e32 v169, 0x82, v168                             // 00000000ED7C: 695350FF 00000082
	v_cmp_lt_u32_e32 vcc, v169, v219                           // 00000000ED84: 7D93B7A9
	s_nop 0                                                    // 00000000ED88: BF800000
	v_cndmask_b32_e32 v62, 0, v62, vcc                         // 00000000ED8C: 007C7C80
	v_add_u32_e32 v169, 0x83, v168                             // 00000000ED90: 695350FF 00000083
	v_cmp_lt_u32_e32 vcc, v169, v219                           // 00000000ED98: 7D93B7A9
	s_nop 0                                                    // 00000000ED9C: BF800000
	v_cndmask_b32_e32 v63, 0, v63, vcc                         // 00000000EDA0: 007E7E80
	v_add_u32_e32 v169, 0xc0, v168                             // 00000000EDA4: 695350FF 000000C0
	v_cmp_lt_u32_e32 vcc, v169, v219                           // 00000000EDAC: 7D93B7A9
	s_nop 0                                                    // 00000000EDB0: BF800000
	v_cndmask_b32_e32 v64, 0, v64, vcc                         // 00000000EDB4: 00808080
	v_add_u32_e32 v169, 0xc1, v168                             // 00000000EDB8: 695350FF 000000C1
	v_cmp_lt_u32_e32 vcc, v169, v219                           // 00000000EDC0: 7D93B7A9
	s_nop 0                                                    // 00000000EDC4: BF800000
	v_cndmask_b32_e32 v65, 0, v65, vcc                         // 00000000EDC8: 00828280
	v_add_u32_e32 v169, 0xc2, v168                             // 00000000EDCC: 695350FF 000000C2
	v_cmp_lt_u32_e32 vcc, v169, v219                           // 00000000EDD4: 7D93B7A9
	s_nop 0                                                    // 00000000EDD8: BF800000
	v_cndmask_b32_e32 v66, 0, v66, vcc                         // 00000000EDDC: 00848480
	v_add_u32_e32 v169, 0xc3, v168                             // 00000000EDE0: 695350FF 000000C3
	v_cmp_lt_u32_e32 vcc, v169, v219                           // 00000000EDE8: 7D93B7A9
	s_nop 0                                                    // 00000000EDEC: BF800000
	v_cndmask_b32_e32 v67, 0, v67, vcc                         // 00000000EDF0: 00868680
	v_add_u32_e32 v169, 0, v168                                // 00000000EDF4: 69535080
	v_cmp_lt_u32_e32 vcc, v169, v220                           // 00000000EDF8: 7D93B9A9
	s_nop 0                                                    // 00000000EDFC: BF800000
	v_cndmask_b32_e32 v68, 0, v68, vcc                         // 00000000EE00: 00888880
	v_add_u32_e32 v169, 1, v168                                // 00000000EE04: 69535081
	v_cmp_lt_u32_e32 vcc, v169, v220                           // 00000000EE08: 7D93B9A9
	s_nop 0                                                    // 00000000EE0C: BF800000
	v_cndmask_b32_e32 v69, 0, v69, vcc                         // 00000000EE10: 008A8A80
	v_add_u32_e32 v169, 2, v168                                // 00000000EE14: 69535082
	v_cmp_lt_u32_e32 vcc, v169, v220                           // 00000000EE18: 7D93B9A9
	s_nop 0                                                    // 00000000EE1C: BF800000
	v_cndmask_b32_e32 v70, 0, v70, vcc                         // 00000000EE20: 008C8C80
	v_add_u32_e32 v169, 3, v168                                // 00000000EE24: 69535083
	v_cmp_lt_u32_e32 vcc, v169, v220                           // 00000000EE28: 7D93B9A9
	s_nop 0                                                    // 00000000EE2C: BF800000
	v_cndmask_b32_e32 v71, 0, v71, vcc                         // 00000000EE30: 008E8E80
	v_add_u32_e32 v169, 64, v168                               // 00000000EE34: 695350C0
	v_cmp_lt_u32_e32 vcc, v169, v220                           // 00000000EE38: 7D93B9A9
	s_nop 0                                                    // 00000000EE3C: BF800000
	v_cndmask_b32_e32 v72, 0, v72, vcc                         // 00000000EE40: 00909080
	v_add_u32_e32 v169, 0x41, v168                             // 00000000EE44: 695350FF 00000041
	v_cmp_lt_u32_e32 vcc, v169, v220                           // 00000000EE4C: 7D93B9A9
	s_nop 0                                                    // 00000000EE50: BF800000
	v_cndmask_b32_e32 v73, 0, v73, vcc                         // 00000000EE54: 00929280
	v_add_u32_e32 v169, 0x42, v168                             // 00000000EE58: 695350FF 00000042
	v_cmp_lt_u32_e32 vcc, v169, v220                           // 00000000EE60: 7D93B9A9
	s_nop 0                                                    // 00000000EE64: BF800000
	v_cndmask_b32_e32 v74, 0, v74, vcc                         // 00000000EE68: 00949480
	v_add_u32_e32 v169, 0x43, v168                             // 00000000EE6C: 695350FF 00000043
	v_cmp_lt_u32_e32 vcc, v169, v220                           // 00000000EE74: 7D93B9A9
	s_nop 0                                                    // 00000000EE78: BF800000
	v_cndmask_b32_e32 v75, 0, v75, vcc                         // 00000000EE7C: 00969680
	v_add_u32_e32 v169, 0x80, v168                             // 00000000EE80: 695350FF 00000080
	v_cmp_lt_u32_e32 vcc, v169, v220                           // 00000000EE88: 7D93B9A9
	s_nop 0                                                    // 00000000EE8C: BF800000
	v_cndmask_b32_e32 v76, 0, v76, vcc                         // 00000000EE90: 00989880
	v_add_u32_e32 v169, 0x81, v168                             // 00000000EE94: 695350FF 00000081
	v_cmp_lt_u32_e32 vcc, v169, v220                           // 00000000EE9C: 7D93B9A9
	s_nop 0                                                    // 00000000EEA0: BF800000
	v_cndmask_b32_e32 v77, 0, v77, vcc                         // 00000000EEA4: 009A9A80
	v_add_u32_e32 v169, 0x82, v168                             // 00000000EEA8: 695350FF 00000082
	v_cmp_lt_u32_e32 vcc, v169, v220                           // 00000000EEB0: 7D93B9A9
	s_nop 0                                                    // 00000000EEB4: BF800000
	v_cndmask_b32_e32 v78, 0, v78, vcc                         // 00000000EEB8: 009C9C80
	v_add_u32_e32 v169, 0x83, v168                             // 00000000EEBC: 695350FF 00000083
	v_cmp_lt_u32_e32 vcc, v169, v220                           // 00000000EEC4: 7D93B9A9
	s_nop 0                                                    // 00000000EEC8: BF800000
	v_cndmask_b32_e32 v79, 0, v79, vcc                         // 00000000EECC: 009E9E80
	v_add_u32_e32 v169, 0xc0, v168                             // 00000000EED0: 695350FF 000000C0
	v_cmp_lt_u32_e32 vcc, v169, v220                           // 00000000EED8: 7D93B9A9
	s_nop 0                                                    // 00000000EEDC: BF800000
	v_cndmask_b32_e32 v80, 0, v80, vcc                         // 00000000EEE0: 00A0A080
	v_add_u32_e32 v169, 0xc1, v168                             // 00000000EEE4: 695350FF 000000C1
	v_cmp_lt_u32_e32 vcc, v169, v220                           // 00000000EEEC: 7D93B9A9
	s_nop 0                                                    // 00000000EEF0: BF800000
	v_cndmask_b32_e32 v81, 0, v81, vcc                         // 00000000EEF4: 00A2A280
	v_add_u32_e32 v169, 0xc2, v168                             // 00000000EEF8: 695350FF 000000C2
	v_cmp_lt_u32_e32 vcc, v169, v220                           // 00000000EF00: 7D93B9A9
	s_nop 0                                                    // 00000000EF04: BF800000
	v_cndmask_b32_e32 v82, 0, v82, vcc                         // 00000000EF08: 00A4A480
	v_add_u32_e32 v169, 0xc3, v168                             // 00000000EF0C: 695350FF 000000C3
	v_cmp_lt_u32_e32 vcc, v169, v220                           // 00000000EF14: 7D93B9A9
	s_nop 0                                                    // 00000000EF18: BF800000
	v_cndmask_b32_e32 v83, 0, v83, vcc                         // 00000000EF1C: 00A6A680
	v_add_u32_e32 v168, s64, v223                              // 00000000EF20: 6951BE40
	v_add_u32_e32 v169, 0, v168                                // 00000000EF24: 69535080
	v_cmp_lt_u32_e32 vcc, v169, v221                           // 00000000EF28: 7D93BBA9
	s_nop 0                                                    // 00000000EF2C: BF800000
	v_cndmask_b32_e32 v84, 0, v84, vcc                         // 00000000EF30: 00A8A880
	v_add_u32_e32 v169, 1, v168                                // 00000000EF34: 69535081
	v_cmp_lt_u32_e32 vcc, v169, v221                           // 00000000EF38: 7D93BBA9
	s_nop 0                                                    // 00000000EF3C: BF800000
	v_cndmask_b32_e32 v85, 0, v85, vcc                         // 00000000EF40: 00AAAA80
	v_add_u32_e32 v169, 2, v168                                // 00000000EF44: 69535082
	v_cmp_lt_u32_e32 vcc, v169, v221                           // 00000000EF48: 7D93BBA9
	s_nop 0                                                    // 00000000EF4C: BF800000
	v_cndmask_b32_e32 v86, 0, v86, vcc                         // 00000000EF50: 00ACAC80
	v_add_u32_e32 v169, 3, v168                                // 00000000EF54: 69535083
	v_cmp_lt_u32_e32 vcc, v169, v221                           // 00000000EF58: 7D93BBA9
	s_nop 0                                                    // 00000000EF5C: BF800000
	v_cndmask_b32_e32 v87, 0, v87, vcc                         // 00000000EF60: 00AEAE80
	v_add_u32_e32 v169, 64, v168                               // 00000000EF64: 695350C0
	v_cmp_lt_u32_e32 vcc, v169, v221                           // 00000000EF68: 7D93BBA9
	s_nop 0                                                    // 00000000EF6C: BF800000
	v_cndmask_b32_e32 v88, 0, v88, vcc                         // 00000000EF70: 00B0B080
	v_add_u32_e32 v169, 0x41, v168                             // 00000000EF74: 695350FF 00000041
	v_cmp_lt_u32_e32 vcc, v169, v221                           // 00000000EF7C: 7D93BBA9
	s_nop 0                                                    // 00000000EF80: BF800000
	v_cndmask_b32_e32 v89, 0, v89, vcc                         // 00000000EF84: 00B2B280
	v_add_u32_e32 v169, 0x42, v168                             // 00000000EF88: 695350FF 00000042
	v_cmp_lt_u32_e32 vcc, v169, v221                           // 00000000EF90: 7D93BBA9
	s_nop 0                                                    // 00000000EF94: BF800000
	v_cndmask_b32_e32 v90, 0, v90, vcc                         // 00000000EF98: 00B4B480
	v_add_u32_e32 v169, 0x43, v168                             // 00000000EF9C: 695350FF 00000043
	v_cmp_lt_u32_e32 vcc, v169, v221                           // 00000000EFA4: 7D93BBA9
	s_nop 0                                                    // 00000000EFA8: BF800000
	v_cndmask_b32_e32 v91, 0, v91, vcc                         // 00000000EFAC: 00B6B680
	v_mov_b32_e32 v190, 0x358637bd                             // 00000000EFB0: 7F7C02FF 358637BD
	v_max3_f32 v190, |v84|, |v85|, v190                        // 00000000EFB8: D1D303BE 06FAAB54
	v_max3_f32 v190, |v86|, |v87|, v190                        // 00000000EFC0: D1D303BE 06FAAF56
	v_max3_f32 v190, |v88|, |v89|, v190                        // 00000000EFC8: D1D303BE 06FAB358
	v_max3_f32 v190, |v90|, |v91|, v190                        // 00000000EFD0: D1D303BE 06FAB75A
	v_mov_b32_e32 v189, 0x358637bd                             // 00000000EFD8: 7F7A02FF 358637BD
	v_max3_f32 v189, |v68|, |v69|, v189                        // 00000000EFE0: D1D303BD 06F68B44
	v_max3_f32 v189, |v70|, |v71|, v189                        // 00000000EFE8: D1D303BD 06F68F46
	v_max3_f32 v189, |v72|, |v73|, v189                        // 00000000EFF0: D1D303BD 06F69348
	v_max3_f32 v189, |v74|, |v75|, v189                        // 00000000EFF8: D1D303BD 06F6974A
	v_max3_f32 v189, |v76|, |v77|, v189                        // 00000000F000: D1D303BD 06F69B4C
	v_max3_f32 v189, |v78|, |v79|, v189                        // 00000000F008: D1D303BD 06F69F4E
	v_max3_f32 v189, |v80|, |v81|, v189                        // 00000000F010: D1D303BD 06F6A350
	v_max3_f32 v189, |v82|, |v83|, v189                        // 00000000F018: D1D303BD 06F6A752
	v_mov_b32_e32 v188, 0x358637bd                             // 00000000F020: 7F7802FF 358637BD
	v_max3_f32 v188, |v52|, |v53|, v188                        // 00000000F028: D1D303BC 06F26B34
	v_max3_f32 v188, |v54|, |v55|, v188                        // 00000000F030: D1D303BC 06F26F36
	v_max3_f32 v188, |v56|, |v57|, v188                        // 00000000F038: D1D303BC 06F27338
	v_max3_f32 v188, |v58|, |v59|, v188                        // 00000000F040: D1D303BC 06F2773A
	v_max3_f32 v188, |v60|, |v61|, v188                        // 00000000F048: D1D303BC 06F27B3C
	v_max3_f32 v188, |v62|, |v63|, v188                        // 00000000F050: D1D303BC 06F27F3E
	v_max3_f32 v188, |v64|, |v65|, v188                        // 00000000F058: D1D303BC 06F28340
	v_max3_f32 v188, |v66|, |v67|, v188                        // 00000000F060: D1D303BC 06F28742
	v_max_f32_dpp v190, v190, v190 row_ror:8 row_mask:0xf bank_mask:0xf// 00000000F068: 177D7CFA FF0128BE
	ds_bpermute_b32 v172, v212, v188                           // 00000000F070: D87E0000 AC00BCD4
	ds_bpermute_b32 v173, v213, v188                           // 00000000F078: D87E0000 AD00BCD5
	ds_bpermute_b32 v174, v214, v188                           // 00000000F080: D87E0000 AE00BCD6
	ds_bpermute_b32 v175, v212, v189                           // 00000000F088: D87E0000 AF00BDD4
	ds_bpermute_b32 v176, v213, v189                           // 00000000F090: D87E0000 B000BDD5
	ds_bpermute_b32 v177, v214, v189                           // 00000000F098: D87E0000 B100BDD6
	ds_bpermute_b32 v178, v212, v190                           // 00000000F0A0: D87E0000 B200BED4
	ds_bpermute_b32 v179, v213, v190                           // 00000000F0A8: D87E0000 B300BED5
	ds_bpermute_b32 v180, v214, v190                           // 00000000F0B0: D87E0000 B400BED6
	s_waitcnt lgkmcnt(6)                                       // 00000000F0B8: BF8CC67F
	v_max3_f32 v188, v172, v173, v188                          // 00000000F0BC: D1D300BC 06F35BAC
	v_max_f32_e32 v188, v174, v188                             // 00000000F0C4: 177979AE
	s_waitcnt lgkmcnt(3)                                       // 00000000F0C8: BF8CC37F
	v_max3_f32 v189, v175, v176, v189                          // 00000000F0CC: D1D300BD 06F761AF
	v_max_f32_e32 v189, v177, v189                             // 00000000F0D4: 177B7BB1
	s_waitcnt lgkmcnt(0)                                       // 00000000F0D8: BF8CC07F
	v_max3_f32 v190, v178, v179, v190                          // 00000000F0DC: D1D300BE 06FB67B2
	v_max_f32_e32 v190, v180, v190                             // 00000000F0E4: 177D7DB4
	ds_write_b128 v252, v[188:191] offset:4096                 // 00000000F0E8: D9BE1000 0000BCFC
	buffer_load_dword v154, v238, s[20:23], 0 offen            // 00000000F0F0: E0501000 80059AEE
	v_sub_f32_e32 v200, v194, v197                             // 00000000F0F8: 05918BC2
	v_cmp_eq_u32_e64 s[98:99], v225, v194                      // 00000000F0FC: D0CA0062 000385E1
	v_cndmask_b32_e64 v200, v200, 0, s[98:99]                  // 00000000F104: D10000C8 018901C8
	v_mov_b32_e32 v194, v197                                   // 00000000F10C: 7F8403C5
	v_mul_f32_e32 v200, s46, v200                              // 00000000F110: 0B91902E
	v_exp_f32_e32 v200, v200                                   // 00000000F114: 7F9041C8
	v_sub_f32_e32 v202, v195, v198                             // 00000000F118: 05958DC3
	v_cmp_eq_u32_e64 s[98:99], v225, v195                      // 00000000F11C: D0CA0062 000387E1
	v_cndmask_b32_e64 v202, v202, 0, s[98:99]                  // 00000000F124: D10000CA 018901CA
	v_mov_b32_e32 v195, v198                                   // 00000000F12C: 7F8603C6
	v_mul_f32_e32 v202, s46, v202                              // 00000000F130: 0B95942E
	v_exp_f32_e32 v202, v202                                   // 00000000F134: 7F9441CA
	v_sub_f32_e32 v204, v196, v199                             // 00000000F138: 05998FC4
	v_cmp_eq_u32_e64 s[98:99], v225, v196                      // 00000000F13C: D0CA0062 000389E1
	v_cndmask_b32_e64 v204, v204, 0, s[98:99]                  // 00000000F144: D10000CC 018901CC
	v_mov_b32_e32 v196, v199                                   // 00000000F14C: 7F8803C7
	v_mul_f32_e32 v204, s46, v204                              // 00000000F150: 0B99982E
	v_exp_f32_e32 v204, v204                                   // 00000000F154: 7F9841CC
	v_mov_b32_e32 v201, v200                                   // 00000000F158: 7F9203C8
	v_mov_b32_e32 v203, v202                                   // 00000000F15C: 7F9603CA
	v_mov_b32_e32 v205, v204                                   // 00000000F160: 7F9A03CC
	s_waitcnt lgkmcnt(0)                                       // 00000000F164: BF8CC07F
	s_barrier                                                  // 00000000F168: BF8A0000
	ds_read_b128 v[172:175], v253 offset:4096                  // 00000000F16C: D9FE1000 AC0000FD
	ds_read_b128 v[176:179], v253 offset:4352                  // 00000000F174: D9FE1100 B00000FD
	ds_read_b128 v[180:183], v253 offset:4608                  // 00000000F17C: D9FE1200 B40000FD
	ds_read_b128 v[184:187], v253 offset:4864                  // 00000000F184: D9FE1300 B80000FD
	buffer_load_dword v156, v239, s[24:27], 0 offen            // 00000000F18C: E0501000 80069CEF
	v_mul_f32_e32 v206, v200, v206                             // 00000000F194: 0B9D9DC8
	v_mov_b32_e32 v207, 0                                      // 00000000F198: 7F9E0280
	v_pk_add_f32 v[206:207], v[4:5], v[206:207]                // 00000000F19C: D3B240CE 18039D04
	v_pk_add_f32 v[206:207], v[6:7], v[206:207]                // 00000000F1A4: D3B240CE 18039D06
	v_pk_add_f32 v[206:207], v[8:9], v[206:207]                // 00000000F1AC: D3B240CE 18039D08
	v_pk_add_f32 v[206:207], v[10:11], v[206:207]              // 00000000F1B4: D3B240CE 18039D0A
	v_pk_add_f32 v[206:207], v[12:13], v[206:207]              // 00000000F1BC: D3B240CE 18039D0C
	v_pk_add_f32 v[206:207], v[14:15], v[206:207]              // 00000000F1C4: D3B240CE 18039D0E
	v_pk_add_f32 v[206:207], v[16:17], v[206:207]              // 00000000F1CC: D3B240CE 18039D10
	v_pk_add_f32 v[206:207], v[18:19], v[206:207]              // 00000000F1D4: D3B240CE 18039D12
	v_add_f32_e32 v206, v207, v206                             // 00000000F1DC: 039D9DCF
	v_mul_f32_e32 v208, v202, v208                             // 00000000F1E0: 0BA1A1CA
	v_mov_b32_e32 v209, 0                                      // 00000000F1E4: 7FA20280
	v_pk_add_f32 v[208:209], v[20:21], v[208:209]              // 00000000F1E8: D3B240D0 1803A114
	v_pk_add_f32 v[208:209], v[22:23], v[208:209]              // 00000000F1F0: D3B240D0 1803A116
	v_pk_add_f32 v[208:209], v[24:25], v[208:209]              // 00000000F1F8: D3B240D0 1803A118
	v_pk_add_f32 v[208:209], v[26:27], v[208:209]              // 00000000F200: D3B240D0 1803A11A
	v_pk_add_f32 v[208:209], v[28:29], v[208:209]              // 00000000F208: D3B240D0 1803A11C
	v_pk_add_f32 v[208:209], v[30:31], v[208:209]              // 00000000F210: D3B240D0 1803A11E
	v_pk_add_f32 v[208:209], v[32:33], v[208:209]              // 00000000F218: D3B240D0 1803A120
	v_pk_add_f32 v[208:209], v[34:35], v[208:209]              // 00000000F220: D3B240D0 1803A122
	v_add_f32_e32 v208, v209, v208                             // 00000000F228: 03A1A1D1
	v_mul_f32_e32 v210, v204, v210                             // 00000000F22C: 0BA5A5CC
	v_mov_b32_e32 v211, 0                                      // 00000000F230: 7FA60280
	v_pk_add_f32 v[210:211], v[36:37], v[210:211]              // 00000000F234: D3B240D2 1803A524
	v_pk_add_f32 v[210:211], v[38:39], v[210:211]              // 00000000F23C: D3B240D2 1803A526
	v_pk_add_f32 v[210:211], v[40:41], v[210:211]              // 00000000F244: D3B240D2 1803A528
	v_pk_add_f32 v[210:211], v[42:43], v[210:211]              // 00000000F24C: D3B240D2 1803A52A
	v_add_f32_e32 v210, v211, v210                             // 00000000F254: 03A5A5D3
	s_waitcnt lgkmcnt(0)                                       // 00000000F258: BF8CC07F
	v_max3_f32 v188, v172, v176, v188                          // 00000000F25C: D1D300BC 06F361AC
	v_max3_f32 v189, v173, v177, v189                          // 00000000F264: D1D300BD 06F763AD
	v_max3_f32 v190, v174, v178, v190                          // 00000000F26C: D1D300BE 06FB65AE
	v_max3_f32 v188, v180, v184, v188                          // 00000000F274: D1D300BC 06F371B4
	v_max3_f32 v189, v181, v185, v189                          // 00000000F27C: D1D300BD 06F773B5
	v_max3_f32 v190, v182, v186, v190                          // 00000000F284: D1D300BE 06FB75B6
	v_rcp_f32_e32 v188, v188                                   // 00000000F28C: 7F7845BC
	v_rcp_f32_e32 v189, v189                                   // 00000000F290: 7F7A45BD
	v_rcp_f32_e32 v190, v190                                   // 00000000F294: 7F7C45BE
	v_mul_f32_e32 v188, 0x43700000, v188                       // 00000000F298: 0B7978FF 43700000
	v_mul_f32_e32 v189, 0x43700000, v189                       // 00000000F2A0: 0B7B7AFF 43700000
	v_mul_f32_e32 v190, 0x43700000, v190                       // 00000000F2A8: 0B7D7CFF 43700000
	v_mov_b32_e32 v192, v190                                   // 00000000F2B0: 7F8003BE
	v_mov_b32_e32 v193, v190                                   // 00000000F2B4: 7F8203BE
	v_mov_b32_e32 v190, v189                                   // 00000000F2B8: 7F7C03BD
	v_mov_b32_e32 v191, v189                                   // 00000000F2BC: 7F7E03BD
	v_mov_b32_e32 v189, v188                                   // 00000000F2C0: 7F7A03BC
	v_pk_mul_f32 v[4:5], v[188:189], v[52:53]                  // 00000000F2C4: D3B14004 180269BC
	v_pk_mul_f32 v[6:7], v[188:189], v[54:55]                  // 00000000F2CC: D3B14006 18026DBC
	v_pk_mul_f32 v[8:9], v[188:189], v[56:57]                  // 00000000F2D4: D3B14008 180271BC
	v_pk_mul_f32 v[10:11], v[188:189], v[58:59]                // 00000000F2DC: D3B1400A 180275BC
	v_pk_mul_f32 v[12:13], v[188:189], v[60:61]                // 00000000F2E4: D3B1400C 180279BC
	v_pk_mul_f32 v[14:15], v[188:189], v[62:63]                // 00000000F2EC: D3B1400E 18027DBC
	v_pk_mul_f32 v[16:17], v[188:189], v[64:65]                // 00000000F2F4: D3B14010 180281BC
	v_pk_mul_f32 v[18:19], v[188:189], v[66:67]                // 00000000F2FC: D3B14012 180285BC
	v_pk_mul_f32 v[20:21], v[190:191], v[68:69]                // 00000000F304: D3B14014 180289BE
	v_pk_mul_f32 v[22:23], v[190:191], v[70:71]                // 00000000F30C: D3B14016 18028DBE
	v_pk_mul_f32 v[24:25], v[190:191], v[72:73]                // 00000000F314: D3B14018 180291BE
	v_pk_mul_f32 v[26:27], v[190:191], v[74:75]                // 00000000F31C: D3B1401A 180295BE
	v_pk_mul_f32 v[28:29], v[190:191], v[76:77]                // 00000000F324: D3B1401C 180299BE
	v_pk_mul_f32 v[30:31], v[190:191], v[78:79]                // 00000000F32C: D3B1401E 18029DBE
	v_pk_mul_f32 v[32:33], v[190:191], v[80:81]                // 00000000F334: D3B14020 1802A1BE
	v_pk_mul_f32 v[34:35], v[190:191], v[82:83]                // 00000000F33C: D3B14022 1802A5BE
	v_pk_mul_f32 v[36:37], v[192:193], v[84:85]                // 00000000F344: D3B14024 1802A9C0
	v_pk_mul_f32 v[38:39], v[192:193], v[86:87]                // 00000000F34C: D3B14026 1802ADC0
	v_pk_mul_f32 v[40:41], v[192:193], v[88:89]                // 00000000F354: D3B14028 1802B1C0
	v_pk_mul_f32 v[42:43], v[192:193], v[90:91]                // 00000000F35C: D3B1402A 1802B5C0
	v_cvt_pk_fp8_f32 v4, v4, v5                                // 00000000F364: D2A20004 00020B04
	v_cvt_pk_fp8_f32 v4, v6, v7 op_sel:[0,0,1]                 // 00000000F36C: D2A24004 00020F06
	v_cvt_pk_fp8_f32 v5, v8, v9                                // 00000000F374: D2A20005 00021308
	v_cvt_pk_fp8_f32 v5, v10, v11 op_sel:[0,0,1]               // 00000000F37C: D2A24005 0002170A
	v_cvt_pk_fp8_f32 v6, v12, v13                              // 00000000F384: D2A20006 00021B0C
	v_cvt_pk_fp8_f32 v6, v14, v15 op_sel:[0,0,1]               // 00000000F38C: D2A24006 00021F0E
	v_cvt_pk_fp8_f32 v7, v16, v17                              // 00000000F394: D2A20007 00022310
	v_cvt_pk_fp8_f32 v7, v18, v19 op_sel:[0,0,1]               // 00000000F39C: D2A24007 00022712
	v_cvt_pk_fp8_f32 v8, v20, v21                              // 00000000F3A4: D2A20008 00022B14
	v_cvt_pk_fp8_f32 v8, v22, v23 op_sel:[0,0,1]               // 00000000F3AC: D2A24008 00022F16
	v_cvt_pk_fp8_f32 v9, v24, v25                              // 00000000F3B4: D2A20009 00023318
	v_cvt_pk_fp8_f32 v9, v26, v27 op_sel:[0,0,1]               // 00000000F3BC: D2A24009 0002371A
	v_cvt_pk_fp8_f32 v10, v28, v29                             // 00000000F3C4: D2A2000A 00023B1C
	v_cvt_pk_fp8_f32 v10, v30, v31 op_sel:[0,0,1]              // 00000000F3CC: D2A2400A 00023F1E
	v_cvt_pk_fp8_f32 v11, v32, v33                             // 00000000F3D4: D2A2000B 00024320
	v_cvt_pk_fp8_f32 v11, v34, v35 op_sel:[0,0,1]              // 00000000F3DC: D2A2400B 00024722
	v_cvt_pk_fp8_f32 v12, v36, v37                             // 00000000F3E4: D2A2000C 00024B24
	v_cvt_pk_fp8_f32 v12, v38, v39 op_sel:[0,0,1]              // 00000000F3EC: D2A2400C 00024F26
	v_cvt_pk_fp8_f32 v13, v40, v41                             // 00000000F3F4: D2A2000D 00025328
	v_cvt_pk_fp8_f32 v13, v42, v43 op_sel:[0,0,1]              // 00000000F3FC: D2A2400D 0002572A
	v_mov_b32_dpp v14, v12 row_shl:8 row_mask:0xf bank_mask:0xf bound_ctrl:1// 00000000F404: 7E1C02FA FF09080C
	v_and_b32_e32 v12, v12, v224                               // 00000000F40C: 2619C10C
	v_mov_b32_dpp v15, v13 row_shl:8 row_mask:0xf bank_mask:0xf bound_ctrl:1// 00000000F410: 7E1E02FA FF09080D
	v_and_b32_e32 v13, v13, v224                               // 00000000F418: 261BC10D
	ds_write_b32 v254, v4 offset:8192                          // 00000000F41C: D81A2000 000004FE
	ds_write_b32 v254, v5 offset:9216                          // 00000000F424: D81A2400 000005FE
	ds_write_b32 v254, v6 offset:10240                         // 00000000F42C: D81A2800 000006FE
	ds_write_b32 v254, v7 offset:11264                         // 00000000F434: D81A2C00 000007FE
	ds_write_b32 v254, v8 offset:12288                         // 00000000F43C: D81A3000 000008FE
	ds_write_b32 v254, v9 offset:13312                         // 00000000F444: D81A3400 000009FE
	ds_write_b32 v254, v10 offset:14336                        // 00000000F44C: D81A3800 00000AFE
	ds_write_b32 v254, v11 offset:15360                        // 00000000F454: D81A3C00 00000BFE
	ds_write_b32 v254, v12 offset:16384                        // 00000000F45C: D81A4000 00000CFE
	ds_write_b32 v254, v13 offset:17408                        // 00000000F464: D81A4400 00000DFE
	ds_write_b32 v254, v14 offset:18432                        // 00000000F46C: D81A4800 00000EFE
	ds_write_b32 v254, v15 offset:19456                        // 00000000F474: D81A4C00 00000FFE
	v_rcp_f32_e32 v158, v188                                   // 00000000F47C: 7F3C45BC
	v_rcp_f32_e32 v160, v190                                   // 00000000F480: 7F4045BE
	v_rcp_f32_e32 v162, v192                                   // 00000000F484: 7F4445C0
	v_mov_b32_e32 v159, v158                                   // 00000000F488: 7F3E039E
	v_mov_b32_e32 v161, v160                                   // 00000000F48C: 7F4203A0
	v_mov_b32_e32 v163, v162                                   // 00000000F490: 7F4603A2
	v_pk_add_f32 v[124:125], v[124:125], v[100:101]            // 00000000F494: D3B2407C 1802C97C
	v_pk_add_f32 v[126:127], v[126:127], v[102:103]            // 00000000F49C: D3B2407E 1802CD7E
	v_pk_add_f32 v[128:129], v[128:129], v[104:105]            // 00000000F4A4: D3B24080 1802D180
	v_pk_add_f32 v[130:131], v[130:131], v[106:107]            // 00000000F4AC: D3B24082 1802D582
	v_pk_add_f32 v[132:133], v[132:133], v[108:109]            // 00000000F4B4: D3B24084 1802D984
	v_pk_add_f32 v[134:135], v[134:135], v[110:111]            // 00000000F4BC: D3B24086 1802DD86
	v_pk_add_f32 v[136:137], v[136:137], v[112:113]            // 00000000F4C4: D3B24088 1802E188
	v_pk_add_f32 v[138:139], v[138:139], v[114:115]            // 00000000F4CC: D3B2408A 1802E58A
	v_pk_add_f32 v[140:141], v[140:141], v[116:117]            // 00000000F4D4: D3B2408C 1802E98C
	v_pk_add_f32 v[142:143], v[142:143], v[118:119]            // 00000000F4DC: D3B2408E 1802ED8E
	v_pk_add_f32 v[144:145], v[144:145], v[120:121]            // 00000000F4E4: D3B24090 1802F190
	v_pk_add_f32 v[146:147], v[146:147], v[122:123]            // 00000000F4EC: D3B24092 1802F592
	s_waitcnt lgkmcnt(0)                                       // 00000000F4F4: BF8CC07F
	s_barrier                                                  // 00000000F4F8: BF8A0000
	ds_read_b128 v[4:7], v255 offset:8192                      // 00000000F4FC: D9FE2000 040000FF
	ds_read_b128 v[8:11], v255 offset:9216                     // 00000000F504: D9FE2400 080000FF
	ds_read_b128 v[12:15], v255 offset:10240                   // 00000000F50C: D9FE2800 0C0000FF
	ds_read_b128 v[16:19], v255 offset:11264                   // 00000000F514: D9FE2C00 100000FF
	ds_read_b128 v[20:23], v255 offset:12288                   // 00000000F51C: D9FE3000 140000FF
	ds_read_b128 v[24:27], v255 offset:13312                   // 00000000F524: D9FE3400 180000FF
	ds_read_b128 v[28:31], v255 offset:14336                   // 00000000F52C: D9FE3800 1C0000FF
	ds_read_b128 v[32:35], v255 offset:15360                   // 00000000F534: D9FE3C00 200000FF
	ds_read_b128 v[36:39], v255 offset:16384                   // 00000000F53C: D9FE4000 240000FF
	ds_read_b128 v[40:43], v255 offset:17408                   // 00000000F544: D9FE4400 280000FF
	ds_read_b128 v[44:47], v255 offset:18432                   // 00000000F54C: D9FE4800 2C0000FF
	ds_read_b128 v[48:51], v255 offset:19456                   // 00000000F554: D9FE4C00 300000FF
	s_waitcnt vmcnt(10)                                        // 00000000F55C: BF8C0F7A
	v_lshrrev_b32_e32 v1, 4, v0                                // 00000000F560: 20020084
	v_lshlrev_b32_e32 v1, 4, v1                                // 00000000F564: 24020284
	v_add_u32_e32 v168, s64, v1                                // 00000000F568: 69500240
	v_add_u32_e32 v168, 4, v168                                // 00000000F56C: 69515084
	v_sub_i32 v168, v168, s62                                  // 00000000F570: D29D00A8 00007DA8
	s_mov_b32 s54, 0                                           // 00000000F578: BEB60080
	v_add_i32 v169, s54, v168                                  // 00000000F57C: D29C00A9 00035036
	v_cmp_lt_i32_e64 vcc, v169, 4                              // 00000000F584: D0C1006A 000109A9
	v_min_u32_e32 v169, 4, v169                                // 00000000F58C: 1D535284
	v_lshlrev_b32_e32 v169, 3, v169                            // 00000000F590: 25535283
	v_lshrrev_b32_e64 v170, v169, -1                           // 00000000F594: D11000AA 000183A9
	v_accvgpr_read_b32 v171, a120                              // 00000000F59C: D3D840AB 18000178
	v_cndmask_b32_e32 v171, 0, v171, vcc                       // 00000000F5A4: 01575680
	v_and_b32_e32 v171, v171, v170                             // 00000000F5A8: 275755AB
	v_accvgpr_write_b32 a120, v171                             // 00000000F5AC: D3D94078 180001AB
	v_accvgpr_read_b32 v171, a136                              // 00000000F5B4: D3D840AB 18000188
	v_cndmask_b32_e32 v171, 0, v171, vcc                       // 00000000F5BC: 01575680
	v_and_b32_e32 v171, v171, v170                             // 00000000F5C0: 275755AB
	v_accvgpr_write_b32 a136, v171                             // 00000000F5C4: D3D94088 180001AB
	s_mov_b32 s54, 4                                           // 00000000F5CC: BEB60084
	v_add_i32 v169, s54, v168                                  // 00000000F5D0: D29C00A9 00035036
	v_cmp_lt_i32_e64 vcc, v169, 4                              // 00000000F5D8: D0C1006A 000109A9
	v_min_u32_e32 v169, 4, v169                                // 00000000F5E0: 1D535284
	v_lshlrev_b32_e32 v169, 3, v169                            // 00000000F5E4: 25535283
	v_lshrrev_b32_e64 v170, v169, -1                           // 00000000F5E8: D11000AA 000183A9
	v_accvgpr_read_b32 v171, a121                              // 00000000F5F0: D3D840AB 18000179
	v_cndmask_b32_e32 v171, 0, v171, vcc                       // 00000000F5F8: 01575680
	v_and_b32_e32 v171, v171, v170                             // 00000000F5FC: 275755AB
	v_accvgpr_write_b32 a121, v171                             // 00000000F600: D3D94079 180001AB
	v_accvgpr_read_b32 v171, a137                              // 00000000F608: D3D840AB 18000189
	v_cndmask_b32_e32 v171, 0, v171, vcc                       // 00000000F610: 01575680
	v_and_b32_e32 v171, v171, v170                             // 00000000F614: 275755AB
	v_accvgpr_write_b32 a137, v171                             // 00000000F618: D3D94089 180001AB
	s_mov_b32 s54, 8                                           // 00000000F620: BEB60088
	v_add_i32 v169, s54, v168                                  // 00000000F624: D29C00A9 00035036
	v_cmp_lt_i32_e64 vcc, v169, 4                              // 00000000F62C: D0C1006A 000109A9
	v_min_u32_e32 v169, 4, v169                                // 00000000F634: 1D535284
	v_lshlrev_b32_e32 v169, 3, v169                            // 00000000F638: 25535283
	v_lshrrev_b32_e64 v170, v169, -1                           // 00000000F63C: D11000AA 000183A9
	v_accvgpr_read_b32 v171, a122                              // 00000000F644: D3D840AB 1800017A
	v_cndmask_b32_e32 v171, 0, v171, vcc                       // 00000000F64C: 01575680
	v_and_b32_e32 v171, v171, v170                             // 00000000F650: 275755AB
	v_accvgpr_write_b32 a122, v171                             // 00000000F654: D3D9407A 180001AB
	v_accvgpr_read_b32 v171, a138                              // 00000000F65C: D3D840AB 1800018A
	v_cndmask_b32_e32 v171, 0, v171, vcc                       // 00000000F664: 01575680
	v_and_b32_e32 v171, v171, v170                             // 00000000F668: 275755AB
	v_accvgpr_write_b32 a138, v171                             // 00000000F66C: D3D9408A 180001AB
	s_mov_b32 s54, 12                                          // 00000000F674: BEB6008C
	v_add_i32 v169, s54, v168                                  // 00000000F678: D29C00A9 00035036
	v_cmp_lt_i32_e64 vcc, v169, 4                              // 00000000F680: D0C1006A 000109A9
	v_min_u32_e32 v169, 4, v169                                // 00000000F688: 1D535284
	v_lshlrev_b32_e32 v169, 3, v169                            // 00000000F68C: 25535283
	v_lshrrev_b32_e64 v170, v169, -1                           // 00000000F690: D11000AA 000183A9
	v_accvgpr_read_b32 v171, a123                              // 00000000F698: D3D840AB 1800017B
	v_cndmask_b32_e32 v171, 0, v171, vcc                       // 00000000F6A0: 01575680
	v_and_b32_e32 v171, v171, v170                             // 00000000F6A4: 275755AB
	v_accvgpr_write_b32 a123, v171                             // 00000000F6A8: D3D9407B 180001AB
	v_accvgpr_read_b32 v171, a139                              // 00000000F6B0: D3D840AB 1800018B
	v_cndmask_b32_e32 v171, 0, v171, vcc                       // 00000000F6B8: 01575680
	v_and_b32_e32 v171, v171, v170                             // 00000000F6BC: 275755AB
	v_accvgpr_write_b32 a139, v171                             // 00000000F6C0: D3D9408B 180001AB
	s_mov_b32 s54, 64                                          // 00000000F6C8: BEB600C0
	v_add_i32 v169, s54, v168                                  // 00000000F6CC: D29C00A9 00035036
	v_cmp_lt_i32_e64 vcc, v169, 4                              // 00000000F6D4: D0C1006A 000109A9
	v_min_u32_e32 v169, 4, v169                                // 00000000F6DC: 1D535284
	v_lshlrev_b32_e32 v169, 3, v169                            // 00000000F6E0: 25535283
	v_lshrrev_b32_e64 v170, v169, -1                           // 00000000F6E4: D11000AA 000183A9
	v_accvgpr_read_b32 v171, a124                              // 00000000F6EC: D3D840AB 1800017C
	v_cndmask_b32_e32 v171, 0, v171, vcc                       // 00000000F6F4: 01575680
	v_and_b32_e32 v171, v171, v170                             // 00000000F6F8: 275755AB
	v_accvgpr_write_b32 a124, v171                             // 00000000F6FC: D3D9407C 180001AB
	v_accvgpr_read_b32 v171, a140                              // 00000000F704: D3D840AB 1800018C
	v_cndmask_b32_e32 v171, 0, v171, vcc                       // 00000000F70C: 01575680
	v_and_b32_e32 v171, v171, v170                             // 00000000F710: 275755AB
	v_accvgpr_write_b32 a140, v171                             // 00000000F714: D3D9408C 180001AB
	s_mov_b32 s54, 0x44                                        // 00000000F71C: BEB600FF 00000044
	v_add_i32 v169, s54, v168                                  // 00000000F724: D29C00A9 00035036
	v_cmp_lt_i32_e64 vcc, v169, 4                              // 00000000F72C: D0C1006A 000109A9
	v_min_u32_e32 v169, 4, v169                                // 00000000F734: 1D535284
	v_lshlrev_b32_e32 v169, 3, v169                            // 00000000F738: 25535283
	v_lshrrev_b32_e64 v170, v169, -1                           // 00000000F73C: D11000AA 000183A9
	v_accvgpr_read_b32 v171, a125                              // 00000000F744: D3D840AB 1800017D
	v_cndmask_b32_e32 v171, 0, v171, vcc                       // 00000000F74C: 01575680
	v_and_b32_e32 v171, v171, v170                             // 00000000F750: 275755AB
	v_accvgpr_write_b32 a125, v171                             // 00000000F754: D3D9407D 180001AB
	v_accvgpr_read_b32 v171, a141                              // 00000000F75C: D3D840AB 1800018D
	v_cndmask_b32_e32 v171, 0, v171, vcc                       // 00000000F764: 01575680
	v_and_b32_e32 v171, v171, v170                             // 00000000F768: 275755AB
	v_accvgpr_write_b32 a141, v171                             // 00000000F76C: D3D9408D 180001AB
	s_mov_b32 s54, 0x48                                        // 00000000F774: BEB600FF 00000048
	v_add_i32 v169, s54, v168                                  // 00000000F77C: D29C00A9 00035036
	v_cmp_lt_i32_e64 vcc, v169, 4                              // 00000000F784: D0C1006A 000109A9
	v_min_u32_e32 v169, 4, v169                                // 00000000F78C: 1D535284
	v_lshlrev_b32_e32 v169, 3, v169                            // 00000000F790: 25535283
	v_lshrrev_b32_e64 v170, v169, -1                           // 00000000F794: D11000AA 000183A9
	v_accvgpr_read_b32 v171, a126                              // 00000000F79C: D3D840AB 1800017E
	v_cndmask_b32_e32 v171, 0, v171, vcc                       // 00000000F7A4: 01575680
	v_and_b32_e32 v171, v171, v170                             // 00000000F7A8: 275755AB
	v_accvgpr_write_b32 a126, v171                             // 00000000F7AC: D3D9407E 180001AB
	v_accvgpr_read_b32 v171, a142                              // 00000000F7B4: D3D840AB 1800018E
	v_cndmask_b32_e32 v171, 0, v171, vcc                       // 00000000F7BC: 01575680
	v_and_b32_e32 v171, v171, v170                             // 00000000F7C0: 275755AB
	v_accvgpr_write_b32 a142, v171                             // 00000000F7C4: D3D9408E 180001AB
	s_mov_b32 s54, 0x4c                                        // 00000000F7CC: BEB600FF 0000004C
	v_add_i32 v169, s54, v168                                  // 00000000F7D4: D29C00A9 00035036
	v_cmp_lt_i32_e64 vcc, v169, 4                              // 00000000F7DC: D0C1006A 000109A9
	v_min_u32_e32 v169, 4, v169                                // 00000000F7E4: 1D535284
	v_lshlrev_b32_e32 v169, 3, v169                            // 00000000F7E8: 25535283
	v_lshrrev_b32_e64 v170, v169, -1                           // 00000000F7EC: D11000AA 000183A9
	v_accvgpr_read_b32 v171, a127                              // 00000000F7F4: D3D840AB 1800017F
	v_cndmask_b32_e32 v171, 0, v171, vcc                       // 00000000F7FC: 01575680
	v_and_b32_e32 v171, v171, v170                             // 00000000F800: 275755AB
	v_accvgpr_write_b32 a127, v171                             // 00000000F804: D3D9407F 180001AB
	v_accvgpr_read_b32 v171, a143                              // 00000000F80C: D3D840AB 1800018F
	v_cndmask_b32_e32 v171, 0, v171, vcc                       // 00000000F814: 01575680
	v_and_b32_e32 v171, v171, v170                             // 00000000F818: 275755AB
	v_accvgpr_write_b32 a143, v171                             // 00000000F81C: D3D9408F 180001AB
	s_mov_b32 s54, 0x80                                        // 00000000F824: BEB600FF 00000080
	v_add_i32 v169, s54, v168                                  // 00000000F82C: D29C00A9 00035036
	v_cmp_lt_i32_e64 vcc, v169, 4                              // 00000000F834: D0C1006A 000109A9
	v_min_u32_e32 v169, 4, v169                                // 00000000F83C: 1D535284
	v_lshlrev_b32_e32 v169, 3, v169                            // 00000000F840: 25535283
	v_lshrrev_b32_e64 v170, v169, -1                           // 00000000F844: D11000AA 000183A9
	v_accvgpr_read_b32 v171, a128                              // 00000000F84C: D3D840AB 18000180
	v_cndmask_b32_e32 v171, 0, v171, vcc                       // 00000000F854: 01575680
	v_and_b32_e32 v171, v171, v170                             // 00000000F858: 275755AB
	v_accvgpr_write_b32 a128, v171                             // 00000000F85C: D3D94080 180001AB
	v_accvgpr_read_b32 v171, a144                              // 00000000F864: D3D840AB 18000190
	v_cndmask_b32_e32 v171, 0, v171, vcc                       // 00000000F86C: 01575680
	v_and_b32_e32 v171, v171, v170                             // 00000000F870: 275755AB
	v_accvgpr_write_b32 a144, v171                             // 00000000F874: D3D94090 180001AB
	s_mov_b32 s54, 0x84                                        // 00000000F87C: BEB600FF 00000084
	v_add_i32 v169, s54, v168                                  // 00000000F884: D29C00A9 00035036
	v_cmp_lt_i32_e64 vcc, v169, 4                              // 00000000F88C: D0C1006A 000109A9
	v_min_u32_e32 v169, 4, v169                                // 00000000F894: 1D535284
	v_lshlrev_b32_e32 v169, 3, v169                            // 00000000F898: 25535283
	v_lshrrev_b32_e64 v170, v169, -1                           // 00000000F89C: D11000AA 000183A9
	v_accvgpr_read_b32 v171, a129                              // 00000000F8A4: D3D840AB 18000181
	v_cndmask_b32_e32 v171, 0, v171, vcc                       // 00000000F8AC: 01575680
	v_and_b32_e32 v171, v171, v170                             // 00000000F8B0: 275755AB
	v_accvgpr_write_b32 a129, v171                             // 00000000F8B4: D3D94081 180001AB
	v_accvgpr_read_b32 v171, a145                              // 00000000F8BC: D3D840AB 18000191
	v_cndmask_b32_e32 v171, 0, v171, vcc                       // 00000000F8C4: 01575680
	v_and_b32_e32 v171, v171, v170                             // 00000000F8C8: 275755AB
	v_accvgpr_write_b32 a145, v171                             // 00000000F8CC: D3D94091 180001AB
	s_mov_b32 s54, 0x88                                        // 00000000F8D4: BEB600FF 00000088
	v_add_i32 v169, s54, v168                                  // 00000000F8DC: D29C00A9 00035036
	v_cmp_lt_i32_e64 vcc, v169, 4                              // 00000000F8E4: D0C1006A 000109A9
	v_min_u32_e32 v169, 4, v169                                // 00000000F8EC: 1D535284
	v_lshlrev_b32_e32 v169, 3, v169                            // 00000000F8F0: 25535283
	v_lshrrev_b32_e64 v170, v169, -1                           // 00000000F8F4: D11000AA 000183A9
	v_accvgpr_read_b32 v171, a130                              // 00000000F8FC: D3D840AB 18000182
	v_cndmask_b32_e32 v171, 0, v171, vcc                       // 00000000F904: 01575680
	v_and_b32_e32 v171, v171, v170                             // 00000000F908: 275755AB
	v_accvgpr_write_b32 a130, v171                             // 00000000F90C: D3D94082 180001AB
	v_accvgpr_read_b32 v171, a146                              // 00000000F914: D3D840AB 18000192
	v_cndmask_b32_e32 v171, 0, v171, vcc                       // 00000000F91C: 01575680
	v_and_b32_e32 v171, v171, v170                             // 00000000F920: 275755AB
	v_accvgpr_write_b32 a146, v171                             // 00000000F924: D3D94092 180001AB
	s_mov_b32 s54, 0x8c                                        // 00000000F92C: BEB600FF 0000008C
	v_add_i32 v169, s54, v168                                  // 00000000F934: D29C00A9 00035036
	v_cmp_lt_i32_e64 vcc, v169, 4                              // 00000000F93C: D0C1006A 000109A9
	v_min_u32_e32 v169, 4, v169                                // 00000000F944: 1D535284
	v_lshlrev_b32_e32 v169, 3, v169                            // 00000000F948: 25535283
	v_lshrrev_b32_e64 v170, v169, -1                           // 00000000F94C: D11000AA 000183A9
	v_accvgpr_read_b32 v171, a131                              // 00000000F954: D3D840AB 18000183
	v_cndmask_b32_e32 v171, 0, v171, vcc                       // 00000000F95C: 01575680
	v_and_b32_e32 v171, v171, v170                             // 00000000F960: 275755AB
	v_accvgpr_write_b32 a131, v171                             // 00000000F964: D3D94083 180001AB
	v_accvgpr_read_b32 v171, a147                              // 00000000F96C: D3D840AB 18000193
	v_cndmask_b32_e32 v171, 0, v171, vcc                       // 00000000F974: 01575680
	v_and_b32_e32 v171, v171, v170                             // 00000000F978: 275755AB
	v_accvgpr_write_b32 a147, v171                             // 00000000F97C: D3D94093 180001AB
	s_mov_b32 s54, 0xc0                                        // 00000000F984: BEB600FF 000000C0
	v_add_i32 v169, s54, v168                                  // 00000000F98C: D29C00A9 00035036
	v_cmp_lt_i32_e64 vcc, v169, 4                              // 00000000F994: D0C1006A 000109A9
	v_min_u32_e32 v169, 4, v169                                // 00000000F99C: 1D535284
	v_lshlrev_b32_e32 v169, 3, v169                            // 00000000F9A0: 25535283
	v_lshrrev_b32_e64 v170, v169, -1                           // 00000000F9A4: D11000AA 000183A9
	v_accvgpr_read_b32 v171, a132                              // 00000000F9AC: D3D840AB 18000184
	v_cndmask_b32_e32 v171, 0, v171, vcc                       // 00000000F9B4: 01575680
	v_and_b32_e32 v171, v171, v170                             // 00000000F9B8: 275755AB
	v_accvgpr_write_b32 a132, v171                             // 00000000F9BC: D3D94084 180001AB
	v_accvgpr_read_b32 v171, a148                              // 00000000F9C4: D3D840AB 18000194
	v_cndmask_b32_e32 v171, 0, v171, vcc                       // 00000000F9CC: 01575680
	v_and_b32_e32 v171, v171, v170                             // 00000000F9D0: 275755AB
	v_accvgpr_write_b32 a148, v171                             // 00000000F9D4: D3D94094 180001AB
	s_mov_b32 s54, 0xc4                                        // 00000000F9DC: BEB600FF 000000C4
	v_add_i32 v169, s54, v168                                  // 00000000F9E4: D29C00A9 00035036
	v_cmp_lt_i32_e64 vcc, v169, 4                              // 00000000F9EC: D0C1006A 000109A9
	v_min_u32_e32 v169, 4, v169                                // 00000000F9F4: 1D535284
	v_lshlrev_b32_e32 v169, 3, v169                            // 00000000F9F8: 25535283
	v_lshrrev_b32_e64 v170, v169, -1                           // 00000000F9FC: D11000AA 000183A9
	v_accvgpr_read_b32 v171, a133                              // 00000000FA04: D3D840AB 18000185
	v_cndmask_b32_e32 v171, 0, v171, vcc                       // 00000000FA0C: 01575680
	v_and_b32_e32 v171, v171, v170                             // 00000000FA10: 275755AB
	v_accvgpr_write_b32 a133, v171                             // 00000000FA14: D3D94085 180001AB
	v_accvgpr_read_b32 v171, a149                              // 00000000FA1C: D3D840AB 18000195
	v_cndmask_b32_e32 v171, 0, v171, vcc                       // 00000000FA24: 01575680
	v_and_b32_e32 v171, v171, v170                             // 00000000FA28: 275755AB
	v_accvgpr_write_b32 a149, v171                             // 00000000FA2C: D3D94095 180001AB
	s_mov_b32 s54, 0xc8                                        // 00000000FA34: BEB600FF 000000C8
	v_add_i32 v169, s54, v168                                  // 00000000FA3C: D29C00A9 00035036
	v_cmp_lt_i32_e64 vcc, v169, 4                              // 00000000FA44: D0C1006A 000109A9
	v_min_u32_e32 v169, 4, v169                                // 00000000FA4C: 1D535284
	v_lshlrev_b32_e32 v169, 3, v169                            // 00000000FA50: 25535283
	v_lshrrev_b32_e64 v170, v169, -1                           // 00000000FA54: D11000AA 000183A9
	v_accvgpr_read_b32 v171, a134                              // 00000000FA5C: D3D840AB 18000186
	v_cndmask_b32_e32 v171, 0, v171, vcc                       // 00000000FA64: 01575680
	v_and_b32_e32 v171, v171, v170                             // 00000000FA68: 275755AB
	v_accvgpr_write_b32 a134, v171                             // 00000000FA6C: D3D94086 180001AB
	v_accvgpr_read_b32 v171, a150                              // 00000000FA74: D3D840AB 18000196
	v_cndmask_b32_e32 v171, 0, v171, vcc                       // 00000000FA7C: 01575680
	v_and_b32_e32 v171, v171, v170                             // 00000000FA80: 275755AB
	v_accvgpr_write_b32 a150, v171                             // 00000000FA84: D3D94096 180001AB
	s_mov_b32 s54, 0xcc                                        // 00000000FA8C: BEB600FF 000000CC
	v_add_i32 v169, s54, v168                                  // 00000000FA94: D29C00A9 00035036
	v_cmp_lt_i32_e64 vcc, v169, 4                              // 00000000FA9C: D0C1006A 000109A9
	v_min_u32_e32 v169, 4, v169                                // 00000000FAA4: 1D535284
	v_lshlrev_b32_e32 v169, 3, v169                            // 00000000FAA8: 25535283
	v_lshrrev_b32_e64 v170, v169, -1                           // 00000000FAAC: D11000AA 000183A9
	v_accvgpr_read_b32 v171, a135                              // 00000000FAB4: D3D840AB 18000187
	v_cndmask_b32_e32 v171, 0, v171, vcc                       // 00000000FABC: 01575680
	v_and_b32_e32 v171, v171, v170                             // 00000000FAC0: 275755AB
	v_accvgpr_write_b32 a135, v171                             // 00000000FAC4: D3D94087 180001AB
	v_accvgpr_read_b32 v171, a151                              // 00000000FACC: D3D840AB 18000197
	v_cndmask_b32_e32 v171, 0, v171, vcc                       // 00000000FAD4: 01575680
	v_and_b32_e32 v171, v171, v170                             // 00000000FAD8: 275755AB
	v_accvgpr_write_b32 a151, v171                             // 00000000FADC: D3D94097 180001AB
	s_waitcnt lgkmcnt(11)                                      // 00000000FAE4: BF8CCB7F
	v_mfma_f32_16x16x32_fp8_fp8 v[100:103], a[120:121], v[4:5], 0// 00000000FAE8: D3F30064 0A020978
	v_mfma_f32_16x16x32_fp8_fp8 v[104:107], a[136:137], v[4:5], 0// 00000000FAF0: D3F30068 0A020988
	v_mfma_f32_16x16x32_fp8_fp8 v[100:103], a[122:123], v[6:7], v[100:103]// 00000000FAF8: D3F30064 0D920D7A
	buffer_load_dwordx4 a[88:91], v234, s[16:19], 0 offen      // 00000000FB00: E05C1000 808458EA
	v_mfma_f32_16x16x32_fp8_fp8 v[104:107], a[138:139], v[6:7], v[104:107]// 00000000FB08: D3F30068 0DA20D8A
	s_waitcnt lgkmcnt(10)                                      // 00000000FB10: BF8CCA7F
	v_mfma_f32_16x16x32_fp8_fp8 v[100:103], a[124:125], v[8:9], v[100:103]// 00000000FB14: D3F30064 0D92117C
	v_mfma_f32_16x16x32_fp8_fp8 v[104:107], a[140:141], v[8:9], v[104:107]// 00000000FB1C: D3F30068 0DA2118C
	v_mfma_f32_16x16x32_fp8_fp8 v[100:103], a[126:127], v[10:11], v[100:103]// 00000000FB24: D3F30064 0D92157E
	buffer_load_dwordx4 a[92:95], v235, s[16:19], 0 offen      // 00000000FB2C: E05C1000 80845CEB
	v_mfma_f32_16x16x32_fp8_fp8 v[104:107], a[142:143], v[10:11], v[104:107]// 00000000FB34: D3F30068 0DA2158E
	s_waitcnt lgkmcnt(9)                                       // 00000000FB3C: BF8CC97F
	v_mfma_f32_16x16x32_fp8_fp8 v[100:103], a[128:129], v[12:13], v[100:103]// 00000000FB40: D3F30064 0D921980
	v_mfma_f32_16x16x32_fp8_fp8 v[104:107], a[144:145], v[12:13], v[104:107]// 00000000FB48: D3F30068 0DA21990
	v_mfma_f32_16x16x32_fp8_fp8 v[100:103], a[130:131], v[14:15], v[100:103]// 00000000FB50: D3F30064 0D921D82
	buffer_load_dwordx4 a[96:99], v236, s[16:19], 0 offen      // 00000000FB58: E05C1000 808460EC
	v_mfma_f32_16x16x32_fp8_fp8 v[104:107], a[146:147], v[14:15], v[104:107]// 00000000FB60: D3F30068 0DA21D92
	s_waitcnt lgkmcnt(8)                                       // 00000000FB68: BF8CC87F
	v_mfma_f32_16x16x32_fp8_fp8 v[100:103], a[132:133], v[16:17], v[100:103]// 00000000FB6C: D3F30064 0D922184
	v_mfma_f32_16x16x32_fp8_fp8 v[104:107], a[148:149], v[16:17], v[104:107]// 00000000FB74: D3F30068 0DA22194
	v_mfma_f32_16x16x32_fp8_fp8 v[100:103], a[134:135], v[18:19], v[100:103]// 00000000FB7C: D3F30064 0D922586
	buffer_load_dwordx4 a[100:103], v237, s[16:19], 0 offen    // 00000000FB84: E05C1000 808464ED
	v_mfma_f32_16x16x32_fp8_fp8 v[104:107], a[150:151], v[18:19], v[104:107]// 00000000FB8C: D3F30068 0DA22596
	s_waitcnt lgkmcnt(7)                                       // 00000000FB94: BF8CC77F
	v_mfma_f32_16x16x32_fp8_fp8 v[108:111], a[120:121], v[20:21], 0// 00000000FB98: D3F3006C 0A022978
	v_mfma_f32_16x16x32_fp8_fp8 v[112:115], a[136:137], v[20:21], 0// 00000000FBA0: D3F30070 0A022988
	v_mfma_f32_16x16x32_fp8_fp8 v[108:111], a[122:123], v[22:23], v[108:111]// 00000000FBA8: D3F3006C 0DB22D7A
	buffer_load_dwordx4 a[104:107], v234, s[16:19], 0 offen offset:1024// 00000000FBB0: E05C1400 808468EA
	v_mfma_f32_16x16x32_fp8_fp8 v[112:115], a[138:139], v[22:23], v[112:115]// 00000000FBB8: D3F30070 0DC22D8A
	s_waitcnt lgkmcnt(6)                                       // 00000000FBC0: BF8CC67F
	v_mfma_f32_16x16x32_fp8_fp8 v[108:111], a[124:125], v[24:25], v[108:111]// 00000000FBC4: D3F3006C 0DB2317C
	v_mfma_f32_16x16x32_fp8_fp8 v[112:115], a[140:141], v[24:25], v[112:115]// 00000000FBCC: D3F30070 0DC2318C
	v_mfma_f32_16x16x32_fp8_fp8 v[108:111], a[126:127], v[26:27], v[108:111]// 00000000FBD4: D3F3006C 0DB2357E
	buffer_load_dwordx4 a[108:111], v235, s[16:19], 0 offen offset:1024// 00000000FBDC: E05C1400 80846CEB
	v_mfma_f32_16x16x32_fp8_fp8 v[112:115], a[142:143], v[26:27], v[112:115]// 00000000FBE4: D3F30070 0DC2358E
	s_waitcnt lgkmcnt(5)                                       // 00000000FBEC: BF8CC57F
	v_mfma_f32_16x16x32_fp8_fp8 v[108:111], a[128:129], v[28:29], v[108:111]// 00000000FBF0: D3F3006C 0DB23980
	v_mfma_f32_16x16x32_fp8_fp8 v[112:115], a[144:145], v[28:29], v[112:115]// 00000000FBF8: D3F30070 0DC23990
	v_mfma_f32_16x16x32_fp8_fp8 v[108:111], a[130:131], v[30:31], v[108:111]// 00000000FC00: D3F3006C 0DB23D82
	buffer_load_dwordx4 a[112:115], v236, s[16:19], 0 offen offset:1024// 00000000FC08: E05C1400 808470EC
	v_mfma_f32_16x16x32_fp8_fp8 v[112:115], a[146:147], v[30:31], v[112:115]// 00000000FC10: D3F30070 0DC23D92
	s_waitcnt lgkmcnt(4)                                       // 00000000FC18: BF8CC47F
	v_mfma_f32_16x16x32_fp8_fp8 v[108:111], a[132:133], v[32:33], v[108:111]// 00000000FC1C: D3F3006C 0DB24184
	v_mfma_f32_16x16x32_fp8_fp8 v[112:115], a[148:149], v[32:33], v[112:115]// 00000000FC24: D3F30070 0DC24194
	v_mfma_f32_16x16x32_fp8_fp8 v[108:111], a[134:135], v[34:35], v[108:111]// 00000000FC2C: D3F3006C 0DB24586
	buffer_load_dwordx4 a[116:119], v237, s[16:19], 0 offen offset:1024// 00000000FC34: E05C1400 808474ED
	v_mfma_f32_16x16x32_fp8_fp8 v[112:115], a[150:151], v[34:35], v[112:115]// 00000000FC3C: D3F30070 0DC24596
	s_waitcnt lgkmcnt(3)                                       // 00000000FC44: BF8CC37F
	v_mfma_f32_16x16x32_fp8_fp8 v[116:119], a[120:121], v[36:37], 0// 00000000FC48: D3F30074 0A024978
	v_mfma_f32_16x16x32_fp8_fp8 v[120:123], a[136:137], v[36:37], 0// 00000000FC50: D3F30078 0A024988
	v_mfma_f32_16x16x32_fp8_fp8 v[116:119], a[122:123], v[38:39], v[116:119]// 00000000FC58: D3F30074 0DD24D7A
	v_mfma_f32_16x16x32_fp8_fp8 v[120:123], a[138:139], v[38:39], v[120:123]// 00000000FC60: D3F30078 0DE24D8A
	s_waitcnt lgkmcnt(2)                                       // 00000000FC68: BF8CC27F
	v_mfma_f32_16x16x32_fp8_fp8 v[116:119], a[124:125], v[40:41], v[116:119]// 00000000FC6C: D3F30074 0DD2517C
	v_mfma_f32_16x16x32_fp8_fp8 v[120:123], a[140:141], v[40:41], v[120:123]// 00000000FC74: D3F30078 0DE2518C
	v_mfma_f32_16x16x32_fp8_fp8 v[116:119], a[126:127], v[42:43], v[116:119]// 00000000FC7C: D3F30074 0DD2557E
	v_mfma_f32_16x16x32_fp8_fp8 v[120:123], a[142:143], v[42:43], v[120:123]// 00000000FC84: D3F30078 0DE2558E
	s_waitcnt lgkmcnt(1)                                       // 00000000FC8C: BF8CC17F
	v_mfma_f32_16x16x32_fp8_fp8 v[116:119], a[128:129], v[44:45], v[116:119]// 00000000FC90: D3F30074 0DD25980
	v_mfma_f32_16x16x32_fp8_fp8 v[120:123], a[144:145], v[44:45], v[120:123]// 00000000FC98: D3F30078 0DE25990
	v_mfma_f32_16x16x32_fp8_fp8 v[116:119], a[130:131], v[46:47], v[116:119]// 00000000FCA0: D3F30074 0DD25D82
	v_mfma_f32_16x16x32_fp8_fp8 v[120:123], a[146:147], v[46:47], v[120:123]// 00000000FCA8: D3F30078 0DE25D92
	s_waitcnt lgkmcnt(0)                                       // 00000000FCB0: BF8CC07F
	v_mfma_f32_16x16x32_fp8_fp8 v[116:119], a[132:133], v[48:49], v[116:119]// 00000000FCB4: D3F30074 0DD26184
	v_mfma_f32_16x16x32_fp8_fp8 v[120:123], a[148:149], v[48:49], v[120:123]// 00000000FCBC: D3F30078 0DE26194
	v_mfma_f32_16x16x32_fp8_fp8 v[116:119], a[134:135], v[50:51], v[116:119]// 00000000FCC4: D3F30074 0DD26586
	v_mfma_f32_16x16x32_fp8_fp8 v[120:123], a[150:151], v[50:51], v[120:123]// 00000000FCCC: D3F30078 0DE26596
	s_addk_i32 s64, 0x100                                      // 00000000FCD4: B7400100

000000000000fcd8 <label_3536>:
	s_cmp_lt_i32 s64, s62                                      // 00000000FCD8: BF043E40
	s_cbranch_scc0 label_440C                                  // 00000000FCDC: BF840ED4
	s_waitcnt vmcnt(10)                                        // 00000000FCE0: BF8C0F7A
	v_mfma_f32_16x16x32_fp8_fp8 v[4:7], a[24:25], a[0:1], 0    // 00000000FCE4: D3F30004 1A020118
	s_add_u32 s12, s86, s69                                    // 00000000FCEC: 800C4556
	s_addc_u32 s13, s87, 0                                     // 00000000FCF0: 820D8057
	v_mfma_f32_16x16x32_fp8_fp8 v[4:7], a[26:27], a[2:3], v[4:7]// 00000000FCF4: D3F30004 1C12051A
	s_add_u32 s16, s88, s70                                    // 00000000FCFC: 80104658
	s_addc_u32 s17, s89, 0                                     // 00000000FD00: 82118059
	v_mfma_f32_16x16x32_fp8_fp8 v[4:7], a[28:29], a[4:5], v[4:7]// 00000000FD04: D3F30004 1C12091C
	buffer_load_dwordx4 a[56:59], v232, s[12:15], 0 offen      // 00000000FD0C: E05C1000 808338E8
	v_mfma_f32_16x16x32_fp8_fp8 v[4:7], a[30:31], a[6:7], v[4:7]// 00000000FD14: D3F30004 1C120D1E
	s_add_u32 s20, s90, s71                                    // 00000000FD1C: 8014475A
	s_addc_u32 s21, s91, 0                                     // 00000000FD20: 8215805B
	v_mfma_f32_16x16x32_fp8_fp8 v[8:11], a[32:33], a[0:1], 0   // 00000000FD24: D3F30008 1A020120
	s_add_u32 s24, s92, s71                                    // 00000000FD2C: 8018475C
	s_addc_u32 s25, s93, 0                                     // 00000000FD30: 8219805D
	v_mfma_f32_16x16x32_fp8_fp8 v[8:11], a[34:35], a[2:3], v[8:11]// 00000000FD34: D3F30008 1C220522
	s_mul_i32 s69, s59, s50                                    // 00000000FD3C: 9245323B
	s_mul_i32 s71, s59, s66                                    // 00000000FD40: 9247423B
	v_mfma_f32_16x16x32_fp8_fp8 v[8:11], a[36:37], a[4:5], v[8:11]// 00000000FD44: D3F30008 1C220924
	buffer_load_dwordx4 a[60:63], v233, s[12:15], 0 offen      // 00000000FD4C: E05C1000 80833CE9
	v_mfma_f32_16x16x32_fp8_fp8 v[8:11], a[38:39], a[6:7], v[8:11]// 00000000FD54: D3F30008 1C220D26
	s_mul_i32 s54, s78, s51                                    // 00000000FD5C: 9236334E
	s_add_u32 s69, s69, s54                                    // 00000000FD60: 80453645
	v_mfma_f32_16x16x32_fp8_fp8 v[12:15], a[40:41], a[0:1], 0  // 00000000FD64: D3F3000C 1A020128
	s_mov_b32 s70, s69                                         // 00000000FD6C: BEC60045
	v_mfma_f32_16x16x32_fp8_fp8 v[12:15], a[42:43], a[2:3], v[12:15]// 00000000FD70: D3F3000C 1C32052A
	s_mul_i32 s54, s78, s101                                   // 00000000FD78: 9236654E
	s_add_u32 s71, s71, s54                                    // 00000000FD7C: 80473647
	v_mfma_f32_16x16x32_fp8_fp8 v[12:15], a[44:45], a[4:5], v[12:15]// 00000000FD80: D3F3000C 1C32092C
	buffer_load_dwordx4 a[64:67], v232, s[12:15], 0 offen offset:1024// 00000000FD88: E05C1400 808340E8
	v_mfma_f32_16x16x32_fp8_fp8 v[12:15], a[46:47], a[6:7], v[12:15]// 00000000FD90: D3F3000C 1C320D2E
	v_mfma_f32_16x16x32_fp8_fp8 v[16:19], a[48:49], a[0:1], 0  // 00000000FD98: D3F30010 1A020130
	v_mfma_f32_16x16x32_fp8_fp8 v[16:19], a[50:51], a[2:3], v[16:19]// 00000000FDA0: D3F30010 1C420532
	v_mfma_f32_16x16x32_fp8_fp8 v[16:19], a[52:53], a[4:5], v[16:19]// 00000000FDA8: D3F30010 1C420934
	buffer_load_dwordx4 a[68:71], v233, s[12:15], 0 offen offset:1024// 00000000FDB0: E05C1400 808344E9
	v_mfma_f32_16x16x32_fp8_fp8 v[16:19], a[54:55], a[6:7], v[16:19]// 00000000FDB8: D3F30010 1C420D36
	v_mfma_f32_16x16x32_fp8_fp8 v[20:23], a[24:25], a[8:9], 0  // 00000000FDC0: D3F30014 1A021118
	v_mfma_f32_16x16x32_fp8_fp8 v[20:23], a[26:27], a[10:11], v[20:23]// 00000000FDC8: D3F30014 1C52151A
	v_mfma_f32_16x16x32_fp8_fp8 v[20:23], a[28:29], a[12:13], v[20:23]// 00000000FDD0: D3F30014 1C52191C
	buffer_load_dwordx4 a[72:75], v232, s[12:15], 0 offen offset:2048// 00000000FDD8: E05C1800 808348E8
	v_mfma_f32_16x16x32_fp8_fp8 v[20:23], a[30:31], a[14:15], v[20:23]// 00000000FDE0: D3F30014 1C521D1E
	v_mfma_f32_16x16x32_fp8_fp8 v[24:27], a[32:33], a[8:9], 0  // 00000000FDE8: D3F30018 1A021120
	v_mfma_f32_16x16x32_fp8_fp8 v[24:27], a[34:35], a[10:11], v[24:27]// 00000000FDF0: D3F30018 1C621522
	v_mfma_f32_16x16x32_fp8_fp8 v[24:27], a[36:37], a[12:13], v[24:27]// 00000000FDF8: D3F30018 1C621924
	buffer_load_dwordx4 a[76:79], v233, s[12:15], 0 offen offset:2048// 00000000FE00: E05C1800 80834CE9
	v_mfma_f32_16x16x32_fp8_fp8 v[24:27], a[38:39], a[14:15], v[24:27]// 00000000FE08: D3F30018 1C621D26
	v_mfma_f32_16x16x32_fp8_fp8 v[28:31], a[40:41], a[8:9], 0  // 00000000FE10: D3F3001C 1A021128
	v_mfma_f32_16x16x32_fp8_fp8 v[28:31], a[42:43], a[10:11], v[28:31]// 00000000FE18: D3F3001C 1C72152A
	v_mfma_f32_16x16x32_fp8_fp8 v[28:31], a[44:45], a[12:13], v[28:31]// 00000000FE20: D3F3001C 1C72192C
	buffer_load_dwordx4 a[80:83], v232, s[12:15], 0 offen offset:3072// 00000000FE28: E05C1C00 808350E8
	v_mfma_f32_16x16x32_fp8_fp8 v[28:31], a[46:47], a[14:15], v[28:31]// 00000000FE30: D3F3001C 1C721D2E
	v_mfma_f32_16x16x32_fp8_fp8 v[32:35], a[48:49], a[8:9], 0  // 00000000FE38: D3F30020 1A021130
	v_mfma_f32_16x16x32_fp8_fp8 v[32:35], a[50:51], a[10:11], v[32:35]// 00000000FE40: D3F30020 1C821532
	v_mfma_f32_16x16x32_fp8_fp8 v[32:35], a[52:53], a[12:13], v[32:35]// 00000000FE48: D3F30020 1C821934
	buffer_load_dwordx4 a[84:87], v233, s[12:15], 0 offen offset:3072// 00000000FE50: E05C1C00 808354E9
	v_mfma_f32_16x16x32_fp8_fp8 v[32:35], a[54:55], a[14:15], v[32:35]// 00000000FE58: D3F30020 1C821D36
	v_mfma_f32_16x16x32_fp8_fp8 v[36:39], a[24:25], a[16:17], 0// 00000000FE60: D3F30024 1A022118
	v_mfma_f32_16x16x32_fp8_fp8 v[36:39], a[26:27], a[18:19], v[36:39]// 00000000FE68: D3F30024 1C92251A
	v_mfma_f32_16x16x32_fp8_fp8 v[36:39], a[28:29], a[20:21], v[36:39]// 00000000FE70: D3F30024 1C92291C
	v_mfma_f32_16x16x32_fp8_fp8 v[36:39], a[30:31], a[22:23], v[36:39]// 00000000FE78: D3F30024 1C922D1E
	v_mfma_f32_16x16x32_fp8_fp8 v[40:43], a[32:33], a[16:17], 0// 00000000FE80: D3F30028 1A022120
	v_mfma_f32_16x16x32_fp8_fp8 v[40:43], a[34:35], a[18:19], v[40:43]// 00000000FE88: D3F30028 1CA22522
	v_mfma_f32_16x16x32_fp8_fp8 v[40:43], a[36:37], a[20:21], v[40:43]// 00000000FE90: D3F30028 1CA22924
	v_mfma_f32_16x16x32_fp8_fp8 v[40:43], a[38:39], a[22:23], v[40:43]// 00000000FE98: D3F30028 1CA22D26
	v_mfma_f32_16x16x32_fp8_fp8 v[44:47], a[40:41], a[16:17], 0// 00000000FEA0: D3F3002C 1A022128
	v_mfma_f32_16x16x32_fp8_fp8 v[44:47], a[42:43], a[18:19], v[44:47]// 00000000FEA8: D3F3002C 1CB2252A
	v_mfma_f32_16x16x32_fp8_fp8 v[44:47], a[44:45], a[20:21], v[44:47]// 00000000FEB0: D3F3002C 1CB2292C
	v_mfma_f32_16x16x32_fp8_fp8 v[44:47], a[46:47], a[22:23], v[44:47]// 00000000FEB8: D3F3002C 1CB22D2E
	v_mfma_f32_16x16x32_fp8_fp8 v[48:51], a[48:49], a[16:17], 0// 00000000FEC0: D3F30030 1A022130
	v_mfma_f32_16x16x32_fp8_fp8 v[48:51], a[50:51], a[18:19], v[48:51]// 00000000FEC8: D3F30030 1CC22532
	v_mfma_f32_16x16x32_fp8_fp8 v[48:51], a[52:53], a[20:21], v[48:51]// 00000000FED0: D3F30030 1CC22934
	v_mfma_f32_16x16x32_fp8_fp8 v[48:51], a[54:55], a[22:23], v[48:51]// 00000000FED8: D3F30030 1CC22D36
	s_waitcnt vmcnt(16)                                        // 00000000FEE0: BF8C4F70
	v_or_b32_dpp v36, v44, v36 row_shr:8 row_mask:0xf bank_mask:0xf bound_ctrl:1// 00000000FEE4: 284848FA FF09182C
	v_or_b32_dpp v37, v45, v37 row_shr:8 row_mask:0xf bank_mask:0xf bound_ctrl:1// 00000000FEEC: 284A4AFA FF09182D
	v_or_b32_dpp v38, v46, v38 row_shr:8 row_mask:0xf bank_mask:0xf bound_ctrl:1// 00000000FEF4: 284C4CFA FF09182E
	v_or_b32_dpp v39, v47, v39 row_shr:8 row_mask:0xf bank_mask:0xf bound_ctrl:1// 00000000FEFC: 284E4EFA FF09182F
	v_or_b32_dpp v40, v48, v40 row_shr:8 row_mask:0xf bank_mask:0xf bound_ctrl:1// 00000000FF04: 285050FA FF091830
	v_or_b32_dpp v41, v49, v41 row_shr:8 row_mask:0xf bank_mask:0xf bound_ctrl:1// 00000000FF0C: 285252FA FF091831
	v_or_b32_dpp v42, v50, v42 row_shr:8 row_mask:0xf bank_mask:0xf bound_ctrl:1// 00000000FF14: 285454FA FF091832
	v_or_b32_dpp v43, v51, v43 row_shr:8 row_mask:0xf bank_mask:0xf bound_ctrl:1// 00000000FF1C: 285656FA FF091833
	v_mov_b32_dpp v168, v154 row_shr:4 row_mask:0xf bank_mask:0xf// 00000000FF24: 7F5002FA FF01149A
	v_mov_b32_dpp v169, v154 row_shl:4 row_mask:0xf bank_mask:0xf// 00000000FF2C: 7F5202FA FF01049A
	v_cndmask_b32_e64 v164, v154, v168, s[2:3]                 // 00000000FF34: D10000A4 000B519A
	v_cndmask_b32_e64 v165, v169, v154, s[2:3]                 // 00000000FF3C: D10000A5 000B35A9
	v_mov_b32_dpp v168, v156 row_shr:4 row_mask:0xf bank_mask:0xf// 00000000FF44: 7F5002FA FF01149C
	v_mov_b32_dpp v169, v156 row_shl:4 row_mask:0xf bank_mask:0xf// 00000000FF4C: 7F5202FA FF01049C
	v_cndmask_b32_e64 v166, v156, v168, s[2:3]                 // 00000000FF54: D10000A6 000B519C
	v_cndmask_b32_e64 v167, v169, v156, s[2:3]                 // 00000000FF5C: D10000A7 000B39A9
	v_pk_mul_f32 v[4:5], v[148:149], v[4:5]                    // 00000000FF64: D3B14004 18020994
	v_pk_mul_f32 v[6:7], v[148:149], v[6:7]                    // 00000000FF6C: D3B14006 18020D94
	v_pk_mul_f32 v[8:9], v[148:149], v[8:9]                    // 00000000FF74: D3B14008 18021194
	v_pk_mul_f32 v[10:11], v[148:149], v[10:11]                // 00000000FF7C: D3B1400A 18021594
	v_pk_mul_f32 v[12:13], v[148:149], v[12:13]                // 00000000FF84: D3B1400C 18021994
	v_pk_mul_f32 v[14:15], v[148:149], v[14:15]                // 00000000FF8C: D3B1400E 18021D94
	v_pk_mul_f32 v[16:17], v[148:149], v[16:17]                // 00000000FF94: D3B14010 18022194
	v_pk_mul_f32 v[18:19], v[148:149], v[18:19]                // 00000000FF9C: D3B14012 18022594
	v_mul_f32_dpp v4, v154, v4 row_newbcast:0 row_mask:0xf bank_mask:0xf// 00000000FFA4: 0A0808FA FF01509A
	v_mul_f32_dpp v5, v154, v5 row_newbcast:1 row_mask:0xf bank_mask:0xf// 00000000FFAC: 0A0A0AFA FF01519A
	v_mul_f32_dpp v6, v154, v6 row_newbcast:2 row_mask:0xf bank_mask:0xf// 00000000FFB4: 0A0C0CFA FF01529A
	v_mul_f32_dpp v7, v154, v7 row_newbcast:3 row_mask:0xf bank_mask:0xf// 00000000FFBC: 0A0E0EFA FF01539A
	v_mul_f32_dpp v8, v154, v8 row_newbcast:4 row_mask:0xf bank_mask:0xf// 00000000FFC4: 0A1010FA FF01549A
	v_mul_f32_dpp v9, v154, v9 row_newbcast:5 row_mask:0xf bank_mask:0xf// 00000000FFCC: 0A1212FA FF01559A
	v_mul_f32_dpp v10, v154, v10 row_newbcast:6 row_mask:0xf bank_mask:0xf// 00000000FFD4: 0A1414FA FF01569A
	v_mul_f32_dpp v11, v154, v11 row_newbcast:7 row_mask:0xf bank_mask:0xf// 00000000FFDC: 0A1616FA FF01579A
	v_mul_f32_dpp v12, v154, v12 row_newbcast:8 row_mask:0xf bank_mask:0xf// 00000000FFE4: 0A1818FA FF01589A
	v_mul_f32_dpp v13, v154, v13 row_newbcast:9 row_mask:0xf bank_mask:0xf// 00000000FFEC: 0A1A1AFA FF01599A
	v_mul_f32_dpp v14, v154, v14 row_newbcast:10 row_mask:0xf bank_mask:0xf// 00000000FFF4: 0A1C1CFA FF015A9A
	v_mul_f32_dpp v15, v154, v15 row_newbcast:11 row_mask:0xf bank_mask:0xf// 00000000FFFC: 0A1E1EFA FF015B9A
	v_mul_f32_dpp v16, v154, v16 row_newbcast:12 row_mask:0xf bank_mask:0xf// 000000010004: 0A2020FA FF015C9A
	v_mul_f32_dpp v17, v154, v17 row_newbcast:13 row_mask:0xf bank_mask:0xf// 00000001000C: 0A2222FA FF015D9A
	v_mul_f32_dpp v18, v154, v18 row_newbcast:14 row_mask:0xf bank_mask:0xf// 000000010014: 0A2424FA FF015E9A
	v_mul_f32_dpp v19, v154, v19 row_newbcast:15 row_mask:0xf bank_mask:0xf// 00000001001C: 0A2626FA FF015F9A
	v_pk_mul_f32 v[20:21], v[150:151], v[20:21]                // 000000010024: D3B14014 18022996
	v_pk_mul_f32 v[22:23], v[150:151], v[22:23]                // 00000001002C: D3B14016 18022D96
	v_pk_mul_f32 v[24:25], v[150:151], v[24:25]                // 000000010034: D3B14018 18023196
	v_pk_mul_f32 v[26:27], v[150:151], v[26:27]                // 00000001003C: D3B1401A 18023596
	v_pk_mul_f32 v[28:29], v[150:151], v[28:29]                // 000000010044: D3B1401C 18023996
	v_pk_mul_f32 v[30:31], v[150:151], v[30:31]                // 00000001004C: D3B1401E 18023D96
	v_pk_mul_f32 v[32:33], v[150:151], v[32:33]                // 000000010054: D3B14020 18024196
	v_pk_mul_f32 v[34:35], v[150:151], v[34:35]                // 00000001005C: D3B14022 18024596
	v_mul_f32_dpp v20, v154, v20 row_newbcast:0 row_mask:0xf bank_mask:0xf// 000000010064: 0A2828FA FF01509A
	v_mul_f32_dpp v21, v154, v21 row_newbcast:1 row_mask:0xf bank_mask:0xf// 00000001006C: 0A2A2AFA FF01519A
	v_mul_f32_dpp v22, v154, v22 row_newbcast:2 row_mask:0xf bank_mask:0xf// 000000010074: 0A2C2CFA FF01529A
	v_mul_f32_dpp v23, v154, v23 row_newbcast:3 row_mask:0xf bank_mask:0xf// 00000001007C: 0A2E2EFA FF01539A
	v_mul_f32_dpp v24, v154, v24 row_newbcast:4 row_mask:0xf bank_mask:0xf// 000000010084: 0A3030FA FF01549A
	v_mul_f32_dpp v25, v154, v25 row_newbcast:5 row_mask:0xf bank_mask:0xf// 00000001008C: 0A3232FA FF01559A
	v_mul_f32_dpp v26, v154, v26 row_newbcast:6 row_mask:0xf bank_mask:0xf// 000000010094: 0A3434FA FF01569A
	v_mul_f32_dpp v27, v154, v27 row_newbcast:7 row_mask:0xf bank_mask:0xf// 00000001009C: 0A3636FA FF01579A
	v_mul_f32_dpp v28, v154, v28 row_newbcast:8 row_mask:0xf bank_mask:0xf// 0000000100A4: 0A3838FA FF01589A
	v_mul_f32_dpp v29, v154, v29 row_newbcast:9 row_mask:0xf bank_mask:0xf// 0000000100AC: 0A3A3AFA FF01599A
	v_mul_f32_dpp v30, v154, v30 row_newbcast:10 row_mask:0xf bank_mask:0xf// 0000000100B4: 0A3C3CFA FF015A9A
	v_mul_f32_dpp v31, v154, v31 row_newbcast:11 row_mask:0xf bank_mask:0xf// 0000000100BC: 0A3E3EFA FF015B9A
	v_mul_f32_dpp v32, v154, v32 row_newbcast:12 row_mask:0xf bank_mask:0xf// 0000000100C4: 0A4040FA FF015C9A
	v_mul_f32_dpp v33, v154, v33 row_newbcast:13 row_mask:0xf bank_mask:0xf// 0000000100CC: 0A4242FA FF015D9A
	v_mul_f32_dpp v34, v154, v34 row_newbcast:14 row_mask:0xf bank_mask:0xf// 0000000100D4: 0A4444FA FF015E9A
	v_mul_f32_dpp v35, v154, v35 row_newbcast:15 row_mask:0xf bank_mask:0xf// 0000000100DC: 0A4646FA FF015F9A
	v_pk_mul_f32 v[36:37], v[152:153], v[36:37]                // 0000000100E4: D3B14024 18024998
	v_pk_mul_f32 v[38:39], v[152:153], v[38:39]                // 0000000100EC: D3B14026 18024D98
	v_pk_mul_f32 v[40:41], v[152:153], v[40:41]                // 0000000100F4: D3B14028 18025198
	v_pk_mul_f32 v[42:43], v[152:153], v[42:43]                // 0000000100FC: D3B1402A 18025598
	v_mul_f32_dpp v36, v164, v36 quad_perm:[0,0,0,0] row_mask:0xf bank_mask:0xf// 000000010104: 0A4848FA FF0000A4
	v_mul_f32_dpp v37, v164, v37 quad_perm:[1,1,1,1] row_mask:0xf bank_mask:0xf// 00000001010C: 0A4A4AFA FF0055A4
	v_mul_f32_dpp v38, v164, v38 quad_perm:[2,2,2,2] row_mask:0xf bank_mask:0xf// 000000010114: 0A4C4CFA FF00AAA4
	v_mul_f32_dpp v39, v164, v39 quad_perm:[3,3,3,3] row_mask:0xf bank_mask:0xf// 00000001011C: 0A4E4EFA FF00FFA4
	v_mul_f32_dpp v40, v165, v40 quad_perm:[0,0,0,0] row_mask:0xf bank_mask:0xf// 000000010124: 0A5050FA FF0000A5
	v_mul_f32_dpp v41, v165, v41 quad_perm:[1,1,1,1] row_mask:0xf bank_mask:0xf// 00000001012C: 0A5252FA FF0055A5
	v_mul_f32_dpp v42, v165, v42 quad_perm:[2,2,2,2] row_mask:0xf bank_mask:0xf// 000000010134: 0A5454FA FF00AAA5
	v_mul_f32_dpp v43, v165, v43 quad_perm:[3,3,3,3] row_mask:0xf bank_mask:0xf// 00000001013C: 0A5656FA FF00FFA5
	v_add_u32_e32 v168, s64, v222                              // 000000010144: 6951BC40
	v_add_u32_e32 v169, 0, v168                                // 000000010148: 69535080
	v_cmp_lt_u32_e64 s[98:99], v169, v219                      // 00000001014C: D0C90062 0003B7A9
	s_nop 0                                                    // 000000010154: BF800000
	v_cndmask_b32_e64 v4, v225, v4, s[98:99]                   // 000000010158: D1000004 018A09E1
	v_add_u32_e32 v169, 1, v168                                // 000000010160: 69535081
	v_cmp_lt_u32_e64 s[98:99], v169, v219                      // 000000010164: D0C90062 0003B7A9
	s_nop 0                                                    // 00000001016C: BF800000
	v_cndmask_b32_e64 v5, v225, v5, s[98:99]                   // 000000010170: D1000005 018A0BE1
	v_add_u32_e32 v169, 2, v168                                // 000000010178: 69535082
	v_cmp_lt_u32_e64 s[98:99], v169, v219                      // 00000001017C: D0C90062 0003B7A9
	s_nop 0                                                    // 000000010184: BF800000
	v_cndmask_b32_e64 v6, v225, v6, s[98:99]                   // 000000010188: D1000006 018A0DE1
	v_add_u32_e32 v169, 3, v168                                // 000000010190: 69535083
	v_cmp_lt_u32_e64 s[98:99], v169, v219                      // 000000010194: D0C90062 0003B7A9
	s_nop 0                                                    // 00000001019C: BF800000
	v_cndmask_b32_e64 v7, v225, v7, s[98:99]                   // 0000000101A0: D1000007 018A0FE1
	v_add_u32_e32 v169, 64, v168                               // 0000000101A8: 695350C0
	v_cmp_lt_u32_e64 s[98:99], v169, v219                      // 0000000101AC: D0C90062 0003B7A9
	s_nop 0                                                    // 0000000101B4: BF800000
	v_cndmask_b32_e64 v8, v225, v8, s[98:99]                   // 0000000101B8: D1000008 018A11E1
	v_add_u32_e32 v169, 0x41, v168                             // 0000000101C0: 695350FF 00000041
	v_cmp_lt_u32_e64 s[98:99], v169, v219                      // 0000000101C8: D0C90062 0003B7A9
	s_nop 0                                                    // 0000000101D0: BF800000
	v_cndmask_b32_e64 v9, v225, v9, s[98:99]                   // 0000000101D4: D1000009 018A13E1
	v_add_u32_e32 v169, 0x42, v168                             // 0000000101DC: 695350FF 00000042
	v_cmp_lt_u32_e64 s[98:99], v169, v219                      // 0000000101E4: D0C90062 0003B7A9
	s_nop 0                                                    // 0000000101EC: BF800000
	v_cndmask_b32_e64 v10, v225, v10, s[98:99]                 // 0000000101F0: D100000A 018A15E1
	v_add_u32_e32 v169, 0x43, v168                             // 0000000101F8: 695350FF 00000043
	v_cmp_lt_u32_e64 s[98:99], v169, v219                      // 000000010200: D0C90062 0003B7A9
	s_nop 0                                                    // 000000010208: BF800000
	v_cndmask_b32_e64 v11, v225, v11, s[98:99]                 // 00000001020C: D100000B 018A17E1
	v_add_u32_e32 v169, 0x80, v168                             // 000000010214: 695350FF 00000080
	v_cmp_lt_u32_e64 s[98:99], v169, v219                      // 00000001021C: D0C90062 0003B7A9
	s_nop 0                                                    // 000000010224: BF800000
	v_cndmask_b32_e64 v12, v225, v12, s[98:99]                 // 000000010228: D100000C 018A19E1
	v_add_u32_e32 v169, 0x81, v168                             // 000000010230: 695350FF 00000081
	v_cmp_lt_u32_e64 s[98:99], v169, v219                      // 000000010238: D0C90062 0003B7A9
	s_nop 0                                                    // 000000010240: BF800000
	v_cndmask_b32_e64 v13, v225, v13, s[98:99]                 // 000000010244: D100000D 018A1BE1
	v_add_u32_e32 v169, 0x82, v168                             // 00000001024C: 695350FF 00000082
	v_cmp_lt_u32_e64 s[98:99], v169, v219                      // 000000010254: D0C90062 0003B7A9
	s_nop 0                                                    // 00000001025C: BF800000
	v_cndmask_b32_e64 v14, v225, v14, s[98:99]                 // 000000010260: D100000E 018A1DE1
	v_add_u32_e32 v169, 0x83, v168                             // 000000010268: 695350FF 00000083
	v_cmp_lt_u32_e64 s[98:99], v169, v219                      // 000000010270: D0C90062 0003B7A9
	s_nop 0                                                    // 000000010278: BF800000
	v_cndmask_b32_e64 v15, v225, v15, s[98:99]                 // 00000001027C: D100000F 018A1FE1
	v_add_u32_e32 v169, 0xc0, v168                             // 000000010284: 695350FF 000000C0
	v_cmp_lt_u32_e64 s[98:99], v169, v219                      // 00000001028C: D0C90062 0003B7A9
	s_nop 0                                                    // 000000010294: BF800000
	v_cndmask_b32_e64 v16, v225, v16, s[98:99]                 // 000000010298: D1000010 018A21E1
	v_add_u32_e32 v169, 0xc1, v168                             // 0000000102A0: 695350FF 000000C1
	v_cmp_lt_u32_e64 s[98:99], v169, v219                      // 0000000102A8: D0C90062 0003B7A9
	s_nop 0                                                    // 0000000102B0: BF800000
	v_cndmask_b32_e64 v17, v225, v17, s[98:99]                 // 0000000102B4: D1000011 018A23E1
	v_add_u32_e32 v169, 0xc2, v168                             // 0000000102BC: 695350FF 000000C2
	v_cmp_lt_u32_e64 s[98:99], v169, v219                      // 0000000102C4: D0C90062 0003B7A9
	s_nop 0                                                    // 0000000102CC: BF800000
	v_cndmask_b32_e64 v18, v225, v18, s[98:99]                 // 0000000102D0: D1000012 018A25E1
	v_add_u32_e32 v169, 0xc3, v168                             // 0000000102D8: 695350FF 000000C3
	v_cmp_lt_u32_e64 s[98:99], v169, v219                      // 0000000102E0: D0C90062 0003B7A9
	s_nop 0                                                    // 0000000102E8: BF800000
	v_cndmask_b32_e64 v19, v225, v19, s[98:99]                 // 0000000102EC: D1000013 018A27E1
	v_add_u32_e32 v169, 0, v168                                // 0000000102F4: 69535080
	v_cmp_lt_u32_e64 s[98:99], v169, v220                      // 0000000102F8: D0C90062 0003B9A9
	s_nop 0                                                    // 000000010300: BF800000
	v_cndmask_b32_e64 v20, v225, v20, s[98:99]                 // 000000010304: D1000014 018A29E1
	v_add_u32_e32 v169, 1, v168                                // 00000001030C: 69535081
	v_cmp_lt_u32_e64 s[98:99], v169, v220                      // 000000010310: D0C90062 0003B9A9
	s_nop 0                                                    // 000000010318: BF800000
	v_cndmask_b32_e64 v21, v225, v21, s[98:99]                 // 00000001031C: D1000015 018A2BE1
	v_add_u32_e32 v169, 2, v168                                // 000000010324: 69535082
	v_cmp_lt_u32_e64 s[98:99], v169, v220                      // 000000010328: D0C90062 0003B9A9
	s_nop 0                                                    // 000000010330: BF800000
	v_cndmask_b32_e64 v22, v225, v22, s[98:99]                 // 000000010334: D1000016 018A2DE1
	v_add_u32_e32 v169, 3, v168                                // 00000001033C: 69535083
	v_cmp_lt_u32_e64 s[98:99], v169, v220                      // 000000010340: D0C90062 0003B9A9
	s_nop 0                                                    // 000000010348: BF800000
	v_cndmask_b32_e64 v23, v225, v23, s[98:99]                 // 00000001034C: D1000017 018A2FE1
	v_add_u32_e32 v169, 64, v168                               // 000000010354: 695350C0
	v_cmp_lt_u32_e64 s[98:99], v169, v220                      // 000000010358: D0C90062 0003B9A9
	s_nop 0                                                    // 000000010360: BF800000
	v_cndmask_b32_e64 v24, v225, v24, s[98:99]                 // 000000010364: D1000018 018A31E1
	v_add_u32_e32 v169, 0x41, v168                             // 00000001036C: 695350FF 00000041
	v_cmp_lt_u32_e64 s[98:99], v169, v220                      // 000000010374: D0C90062 0003B9A9
	s_nop 0                                                    // 00000001037C: BF800000
	v_cndmask_b32_e64 v25, v225, v25, s[98:99]                 // 000000010380: D1000019 018A33E1
	v_add_u32_e32 v169, 0x42, v168                             // 000000010388: 695350FF 00000042
	v_cmp_lt_u32_e64 s[98:99], v169, v220                      // 000000010390: D0C90062 0003B9A9
	s_nop 0                                                    // 000000010398: BF800000
	v_cndmask_b32_e64 v26, v225, v26, s[98:99]                 // 00000001039C: D100001A 018A35E1
	v_add_u32_e32 v169, 0x43, v168                             // 0000000103A4: 695350FF 00000043
	v_cmp_lt_u32_e64 s[98:99], v169, v220                      // 0000000103AC: D0C90062 0003B9A9
	s_nop 0                                                    // 0000000103B4: BF800000
	v_cndmask_b32_e64 v27, v225, v27, s[98:99]                 // 0000000103B8: D100001B 018A37E1
	v_add_u32_e32 v169, 0x80, v168                             // 0000000103C0: 695350FF 00000080
	v_cmp_lt_u32_e64 s[98:99], v169, v220                      // 0000000103C8: D0C90062 0003B9A9
	s_nop 0                                                    // 0000000103D0: BF800000
	v_cndmask_b32_e64 v28, v225, v28, s[98:99]                 // 0000000103D4: D100001C 018A39E1
	v_add_u32_e32 v169, 0x81, v168                             // 0000000103DC: 695350FF 00000081
	v_cmp_lt_u32_e64 s[98:99], v169, v220                      // 0000000103E4: D0C90062 0003B9A9
	s_nop 0                                                    // 0000000103EC: BF800000
	v_cndmask_b32_e64 v29, v225, v29, s[98:99]                 // 0000000103F0: D100001D 018A3BE1
	v_add_u32_e32 v169, 0x82, v168                             // 0000000103F8: 695350FF 00000082
	v_cmp_lt_u32_e64 s[98:99], v169, v220                      // 000000010400: D0C90062 0003B9A9
	s_nop 0                                                    // 000000010408: BF800000
	v_cndmask_b32_e64 v30, v225, v30, s[98:99]                 // 00000001040C: D100001E 018A3DE1
	v_add_u32_e32 v169, 0x83, v168                             // 000000010414: 695350FF 00000083
	v_cmp_lt_u32_e64 s[98:99], v169, v220                      // 00000001041C: D0C90062 0003B9A9
	s_nop 0                                                    // 000000010424: BF800000
	v_cndmask_b32_e64 v31, v225, v31, s[98:99]                 // 000000010428: D100001F 018A3FE1
	v_add_u32_e32 v169, 0xc0, v168                             // 000000010430: 695350FF 000000C0
	v_cmp_lt_u32_e64 s[98:99], v169, v220                      // 000000010438: D0C90062 0003B9A9
	s_nop 0                                                    // 000000010440: BF800000
	v_cndmask_b32_e64 v32, v225, v32, s[98:99]                 // 000000010444: D1000020 018A41E1
	v_add_u32_e32 v169, 0xc1, v168                             // 00000001044C: 695350FF 000000C1
	v_cmp_lt_u32_e64 s[98:99], v169, v220                      // 000000010454: D0C90062 0003B9A9
	s_nop 0                                                    // 00000001045C: BF800000
	v_cndmask_b32_e64 v33, v225, v33, s[98:99]                 // 000000010460: D1000021 018A43E1
	v_add_u32_e32 v169, 0xc2, v168                             // 000000010468: 695350FF 000000C2
	v_cmp_lt_u32_e64 s[98:99], v169, v220                      // 000000010470: D0C90062 0003B9A9
	s_nop 0                                                    // 000000010478: BF800000
	v_cndmask_b32_e64 v34, v225, v34, s[98:99]                 // 00000001047C: D1000022 018A45E1
	v_add_u32_e32 v169, 0xc3, v168                             // 000000010484: 695350FF 000000C3
	v_cmp_lt_u32_e64 s[98:99], v169, v220                      // 00000001048C: D0C90062 0003B9A9
	s_nop 0                                                    // 000000010494: BF800000
	v_cndmask_b32_e64 v35, v225, v35, s[98:99]                 // 000000010498: D1000023 018A47E1
	v_add_u32_e32 v168, s64, v223                              // 0000000104A0: 6951BE40
	v_add_u32_e32 v169, 0, v168                                // 0000000104A4: 69535080
	v_cmp_lt_u32_e64 s[98:99], v169, v221                      // 0000000104A8: D0C90062 0003BBA9
	s_nop 0                                                    // 0000000104B0: BF800000
	v_cndmask_b32_e64 v36, v225, v36, s[98:99]                 // 0000000104B4: D1000024 018A49E1
	v_add_u32_e32 v169, 1, v168                                // 0000000104BC: 69535081
	v_cmp_lt_u32_e64 s[98:99], v169, v221                      // 0000000104C0: D0C90062 0003BBA9
	s_nop 0                                                    // 0000000104C8: BF800000
	v_cndmask_b32_e64 v37, v225, v37, s[98:99]                 // 0000000104CC: D1000025 018A4BE1
	v_add_u32_e32 v169, 2, v168                                // 0000000104D4: 69535082
	v_cmp_lt_u32_e64 s[98:99], v169, v221                      // 0000000104D8: D0C90062 0003BBA9
	s_nop 0                                                    // 0000000104E0: BF800000
	v_cndmask_b32_e64 v38, v225, v38, s[98:99]                 // 0000000104E4: D1000026 018A4DE1
	v_add_u32_e32 v169, 3, v168                                // 0000000104EC: 69535083
	v_cmp_lt_u32_e64 s[98:99], v169, v221                      // 0000000104F0: D0C90062 0003BBA9
	s_nop 0                                                    // 0000000104F8: BF800000
	v_cndmask_b32_e64 v39, v225, v39, s[98:99]                 // 0000000104FC: D1000027 018A4FE1
	v_add_u32_e32 v169, 64, v168                               // 000000010504: 695350C0
	v_cmp_lt_u32_e64 s[98:99], v169, v221                      // 000000010508: D0C90062 0003BBA9
	s_nop 0                                                    // 000000010510: BF800000
	v_cndmask_b32_e64 v40, v225, v40, s[98:99]                 // 000000010514: D1000028 018A51E1
	v_add_u32_e32 v169, 0x41, v168                             // 00000001051C: 695350FF 00000041
	v_cmp_lt_u32_e64 s[98:99], v169, v221                      // 000000010524: D0C90062 0003BBA9
	s_nop 0                                                    // 00000001052C: BF800000
	v_cndmask_b32_e64 v41, v225, v41, s[98:99]                 // 000000010530: D1000029 018A53E1
	v_add_u32_e32 v169, 0x42, v168                             // 000000010538: 695350FF 00000042
	v_cmp_lt_u32_e64 s[98:99], v169, v221                      // 000000010540: D0C90062 0003BBA9
	s_nop 0                                                    // 000000010548: BF800000
	v_cndmask_b32_e64 v42, v225, v42, s[98:99]                 // 00000001054C: D100002A 018A55E1
	v_add_u32_e32 v169, 0x43, v168                             // 000000010554: 695350FF 00000043
	v_cmp_lt_u32_e64 s[98:99], v169, v221                      // 00000001055C: D0C90062 0003BBA9
	s_nop 0                                                    // 000000010564: BF800000
	v_cndmask_b32_e64 v43, v225, v43, s[98:99]                 // 000000010568: D100002B 018A57E1
	v_mov_b32_e32 v190, v36                                    // 000000010570: 7F7C0324
	v_max3_f32 v190, v36, v37, v190                            // 000000010574: D1D300BE 06FA4B24
	v_max3_f32 v190, v38, v39, v190                            // 00000001057C: D1D300BE 06FA4F26
	v_max3_f32 v190, v40, v41, v190                            // 000000010584: D1D300BE 06FA5328
	v_max3_f32 v190, v42, v43, v190                            // 00000001058C: D1D300BE 06FA572A
	v_mov_b32_e32 v189, v20                                    // 000000010594: 7F7A0314
	v_max3_f32 v189, v20, v21, v189                            // 000000010598: D1D300BD 06F62B14
	v_max3_f32 v189, v22, v23, v189                            // 0000000105A0: D1D300BD 06F62F16
	v_max3_f32 v189, v24, v25, v189                            // 0000000105A8: D1D300BD 06F63318
	v_max3_f32 v189, v26, v27, v189                            // 0000000105B0: D1D300BD 06F6371A
	v_max3_f32 v189, v28, v29, v189                            // 0000000105B8: D1D300BD 06F63B1C
	v_max3_f32 v189, v30, v31, v189                            // 0000000105C0: D1D300BD 06F63F1E
	v_max3_f32 v189, v32, v33, v189                            // 0000000105C8: D1D300BD 06F64320
	v_max3_f32 v189, v34, v35, v189                            // 0000000105D0: D1D300BD 06F64722
	v_mov_b32_e32 v188, v4                                     // 0000000105D8: 7F780304
	v_max3_f32 v188, v4, v5, v188                              // 0000000105DC: D1D300BC 06F20B04
	v_max3_f32 v188, v6, v7, v188                              // 0000000105E4: D1D300BC 06F20F06
	v_max3_f32 v188, v8, v9, v188                              // 0000000105EC: D1D300BC 06F21308
	v_max3_f32 v188, v10, v11, v188                            // 0000000105F4: D1D300BC 06F2170A
	v_max3_f32 v188, v12, v13, v188                            // 0000000105FC: D1D300BC 06F21B0C
	v_max3_f32 v188, v14, v15, v188                            // 000000010604: D1D300BC 06F21F0E
	v_max3_f32 v188, v16, v17, v188                            // 00000001060C: D1D300BC 06F22310
	v_max3_f32 v188, v18, v19, v188                            // 000000010614: D1D300BC 06F22712
	v_max_f32_dpp v190, v190, v190 row_ror:8 row_mask:0xf bank_mask:0xf// 00000001061C: 177D7CFA FF0128BE
	ds_bpermute_b32 v172, v212, v188                           // 000000010624: D87E0000 AC00BCD4
	ds_bpermute_b32 v173, v213, v188                           // 00000001062C: D87E0000 AD00BCD5
	ds_bpermute_b32 v174, v214, v188                           // 000000010634: D87E0000 AE00BCD6
	ds_bpermute_b32 v175, v212, v189                           // 00000001063C: D87E0000 AF00BDD4
	ds_bpermute_b32 v176, v213, v189                           // 000000010644: D87E0000 B000BDD5
	ds_bpermute_b32 v177, v214, v189                           // 00000001064C: D87E0000 B100BDD6
	ds_bpermute_b32 v178, v212, v190                           // 000000010654: D87E0000 B200BED4
	ds_bpermute_b32 v179, v213, v190                           // 00000001065C: D87E0000 B300BED5
	ds_bpermute_b32 v180, v214, v190                           // 000000010664: D87E0000 B400BED6
	v_pk_mul_f32 v[124:125], v[200:201], v[124:125]            // 00000001066C: D3B1407C 1802F9C8
	v_pk_mul_f32 v[126:127], v[200:201], v[126:127]            // 000000010674: D3B1407E 1802FDC8
	v_pk_mul_f32 v[128:129], v[200:201], v[128:129]            // 00000001067C: D3B14080 180301C8
	v_pk_mul_f32 v[130:131], v[200:201], v[130:131]            // 000000010684: D3B14082 180305C8
	v_pk_mul_f32 v[132:133], v[202:203], v[132:133]            // 00000001068C: D3B14084 180309CA
	v_pk_mul_f32 v[134:135], v[202:203], v[134:135]            // 000000010694: D3B14086 18030DCA
	v_pk_mul_f32 v[136:137], v[202:203], v[136:137]            // 00000001069C: D3B14088 180311CA
	v_pk_mul_f32 v[138:139], v[202:203], v[138:139]            // 0000000106A4: D3B1408A 180315CA
	v_pk_mul_f32 v[140:141], v[204:205], v[140:141]            // 0000000106AC: D3B1408C 180319CC
	v_pk_mul_f32 v[142:143], v[204:205], v[142:143]            // 0000000106B4: D3B1408E 18031DCC
	v_pk_mul_f32 v[144:145], v[204:205], v[144:145]            // 0000000106BC: D3B14090 180321CC
	v_pk_mul_f32 v[146:147], v[204:205], v[146:147]            // 0000000106C4: D3B14092 180325CC
	s_waitcnt lgkmcnt(6)                                       // 0000000106CC: BF8CC67F
	v_max3_f32 v188, v172, v173, v188                          // 0000000106D0: D1D300BC 06F35BAC
	v_max_f32_e32 v188, v174, v188                             // 0000000106D8: 177979AE
	s_waitcnt lgkmcnt(3)                                       // 0000000106DC: BF8CC37F
	v_max3_f32 v189, v175, v176, v189                          // 0000000106E0: D1D300BD 06F761AF
	v_max_f32_e32 v189, v177, v189                             // 0000000106E8: 177B7BB1
	s_waitcnt lgkmcnt(0)                                       // 0000000106EC: BF8CC07F
	v_max3_f32 v190, v178, v179, v190                          // 0000000106F0: D1D300BE 06FB67B2
	v_max_f32_e32 v190, v180, v190                             // 0000000106F8: 177D7DB4
	ds_write_b128 v252, v[188:191]                             // 0000000106FC: D9BE0000 0000BCFC
	s_waitcnt lgkmcnt(0)                                       // 000000010704: BF8CC07F
	s_barrier                                                  // 000000010708: BF8A0000
	ds_read_b128 v[172:175], v253                              // 00000001070C: D9FE0000 AC0000FD
	ds_read_b128 v[176:179], v253 offset:256                   // 000000010714: D9FE0100 B00000FD
	ds_read_b128 v[180:183], v253 offset:512                   // 00000001071C: D9FE0200 B40000FD
	ds_read_b128 v[184:187], v253 offset:768                   // 000000010724: D9FE0300 B80000FD
	v_pk_mul_f32 v[100:101], v[158:159], v[100:101]            // 00000001072C: D3B14064 1802C99E
	v_pk_mul_f32 v[102:103], v[158:159], v[102:103]            // 000000010734: D3B14066 1802CD9E
	v_pk_mul_f32 v[104:105], v[158:159], v[104:105]            // 00000001073C: D3B14068 1802D19E
	v_pk_mul_f32 v[106:107], v[158:159], v[106:107]            // 000000010744: D3B1406A 1802D59E
	v_pk_mul_f32 v[108:109], v[160:161], v[108:109]            // 00000001074C: D3B1406C 1802D9A0
	v_pk_mul_f32 v[110:111], v[160:161], v[110:111]            // 000000010754: D3B1406E 1802DDA0
	v_pk_mul_f32 v[112:113], v[160:161], v[112:113]            // 00000001075C: D3B14070 1802E1A0
	v_pk_mul_f32 v[114:115], v[160:161], v[114:115]            // 000000010764: D3B14072 1802E5A0
	v_pk_mul_f32 v[116:117], v[162:163], v[116:117]            // 00000001076C: D3B14074 1802E9A2
	v_pk_mul_f32 v[118:119], v[162:163], v[118:119]            // 000000010774: D3B14076 1802EDA2
	v_pk_mul_f32 v[120:121], v[162:163], v[120:121]            // 00000001077C: D3B14078 1802F1A2
	v_pk_mul_f32 v[122:123], v[162:163], v[122:123]            // 000000010784: D3B1407A 1802F5A2
	s_waitcnt lgkmcnt(0)                                       // 00000001078C: BF8CC07F
	v_max3_f32 v188, v172, v176, v188                          // 000000010790: D1D300BC 06F361AC
	v_max3_f32 v189, v173, v177, v189                          // 000000010798: D1D300BD 06F763AD
	v_max3_f32 v190, v174, v178, v190                          // 0000000107A0: D1D300BE 06FB65AE
	v_max3_f32 v188, v180, v184, v188                          // 0000000107A8: D1D300BC 06F371B4
	v_max3_f32 v189, v181, v185, v189                          // 0000000107B0: D1D300BD 06F773B5
	v_max3_f32 v190, v182, v186, v190                          // 0000000107B8: D1D300BE 06FB75B6
	v_max_f32_e32 v197, v188, v194                             // 0000000107C0: 178B85BC
	v_mul_f32_e64 v168, -s46, v197                             // 0000000107C4: D10500A8 20038A2E
	v_mov_b32_e32 v169, v168                                   // 0000000107CC: 7F5203A8
	v_pk_fma_f32 v[4:5], v[4:5], s[46:47], v[168:169]          // 0000000107D0: D3B04004 1EA05D04
	v_pk_fma_f32 v[6:7], v[6:7], s[46:47], v[168:169]          // 0000000107D8: D3B04006 1EA05D06
	v_exp_f32_e32 v4, v4                                       // 0000000107E0: 7E084104
	v_exp_f32_e32 v5, v5                                       // 0000000107E4: 7E0A4105
	v_exp_f32_e32 v6, v6                                       // 0000000107E8: 7E0C4106
	v_exp_f32_e32 v7, v7                                       // 0000000107EC: 7E0E4107
	v_pk_fma_f32 v[8:9], v[8:9], s[46:47], v[168:169]          // 0000000107F0: D3B04008 1EA05D08
	v_pk_fma_f32 v[10:11], v[10:11], s[46:47], v[168:169]      // 0000000107F8: D3B0400A 1EA05D0A
	v_exp_f32_e32 v8, v8                                       // 000000010800: 7E104108
	v_exp_f32_e32 v9, v9                                       // 000000010804: 7E124109
	v_exp_f32_e32 v10, v10                                     // 000000010808: 7E14410A
	v_exp_f32_e32 v11, v11                                     // 00000001080C: 7E16410B
	v_pk_fma_f32 v[12:13], v[12:13], s[46:47], v[168:169]      // 000000010810: D3B0400C 1EA05D0C
	v_pk_fma_f32 v[14:15], v[14:15], s[46:47], v[168:169]      // 000000010818: D3B0400E 1EA05D0E
	v_exp_f32_e32 v12, v12                                     // 000000010820: 7E18410C
	v_exp_f32_e32 v13, v13                                     // 000000010824: 7E1A410D
	v_exp_f32_e32 v14, v14                                     // 000000010828: 7E1C410E
	v_exp_f32_e32 v15, v15                                     // 00000001082C: 7E1E410F
	v_pk_fma_f32 v[16:17], v[16:17], s[46:47], v[168:169]      // 000000010830: D3B04010 1EA05D10
	v_pk_fma_f32 v[18:19], v[18:19], s[46:47], v[168:169]      // 000000010838: D3B04012 1EA05D12
	v_exp_f32_e32 v16, v16                                     // 000000010840: 7E204110
	v_exp_f32_e32 v17, v17                                     // 000000010844: 7E224111
	v_exp_f32_e32 v18, v18                                     // 000000010848: 7E244112
	v_exp_f32_e32 v19, v19                                     // 00000001084C: 7E264113
	v_max_f32_e32 v198, v189, v195                             // 000000010850: 178D87BD
	v_mul_f32_e64 v168, -s46, v198                             // 000000010854: D10500A8 20038C2E
	v_mov_b32_e32 v169, v168                                   // 00000001085C: 7F5203A8
	v_pk_fma_f32 v[20:21], v[20:21], s[46:47], v[168:169]      // 000000010860: D3B04014 1EA05D14
	v_pk_fma_f32 v[22:23], v[22:23], s[46:47], v[168:169]      // 000000010868: D3B04016 1EA05D16
	v_exp_f32_e32 v20, v20                                     // 000000010870: 7E284114
	v_exp_f32_e32 v21, v21                                     // 000000010874: 7E2A4115
	v_exp_f32_e32 v22, v22                                     // 000000010878: 7E2C4116
	v_exp_f32_e32 v23, v23                                     // 00000001087C: 7E2E4117
	v_pk_fma_f32 v[24:25], v[24:25], s[46:47], v[168:169]      // 000000010880: D3B04018 1EA05D18
	v_pk_fma_f32 v[26:27], v[26:27], s[46:47], v[168:169]      // 000000010888: D3B0401A 1EA05D1A
	v_exp_f32_e32 v24, v24                                     // 000000010890: 7E304118
	v_exp_f32_e32 v25, v25                                     // 000000010894: 7E324119
	v_exp_f32_e32 v26, v26                                     // 000000010898: 7E34411A
	v_exp_f32_e32 v27, v27                                     // 00000001089C: 7E36411B
	v_pk_fma_f32 v[28:29], v[28:29], s[46:47], v[168:169]      // 0000000108A0: D3B0401C 1EA05D1C
	v_pk_fma_f32 v[30:31], v[30:31], s[46:47], v[168:169]      // 0000000108A8: D3B0401E 1EA05D1E
	v_exp_f32_e32 v28, v28                                     // 0000000108B0: 7E38411C
	v_exp_f32_e32 v29, v29                                     // 0000000108B4: 7E3A411D
	v_exp_f32_e32 v30, v30                                     // 0000000108B8: 7E3C411E
	v_exp_f32_e32 v31, v31                                     // 0000000108BC: 7E3E411F
	v_pk_fma_f32 v[32:33], v[32:33], s[46:47], v[168:169]      // 0000000108C0: D3B04020 1EA05D20
	v_pk_fma_f32 v[34:35], v[34:35], s[46:47], v[168:169]      // 0000000108C8: D3B04022 1EA05D22
	v_exp_f32_e32 v32, v32                                     // 0000000108D0: 7E404120
	v_exp_f32_e32 v33, v33                                     // 0000000108D4: 7E424121
	v_exp_f32_e32 v34, v34                                     // 0000000108D8: 7E444122
	v_exp_f32_e32 v35, v35                                     // 0000000108DC: 7E464123
	v_max_f32_e32 v199, v190, v196                             // 0000000108E0: 178F89BE
	v_mul_f32_e64 v168, -s46, v199                             // 0000000108E4: D10500A8 20038E2E
	v_mov_b32_e32 v169, v168                                   // 0000000108EC: 7F5203A8
	v_pk_fma_f32 v[36:37], v[36:37], s[46:47], v[168:169]      // 0000000108F0: D3B04024 1EA05D24
	v_pk_fma_f32 v[38:39], v[38:39], s[46:47], v[168:169]      // 0000000108F8: D3B04026 1EA05D26
	v_exp_f32_e32 v36, v36                                     // 000000010900: 7E484124
	v_exp_f32_e32 v37, v37                                     // 000000010904: 7E4A4125
	v_exp_f32_e32 v38, v38                                     // 000000010908: 7E4C4126
	v_exp_f32_e32 v39, v39                                     // 00000001090C: 7E4E4127
	v_pk_fma_f32 v[40:41], v[40:41], s[46:47], v[168:169]      // 000000010910: D3B04028 1EA05D28
	v_pk_fma_f32 v[42:43], v[42:43], s[46:47], v[168:169]      // 000000010918: D3B0402A 1EA05D2A
	v_exp_f32_e32 v40, v40                                     // 000000010920: 7E504128
	v_exp_f32_e32 v41, v41                                     // 000000010924: 7E524129
	v_exp_f32_e32 v42, v42                                     // 000000010928: 7E54412A
	v_exp_f32_e32 v43, v43                                     // 00000001092C: 7E56412B
	v_mul_f32_dpp v52, v156, v4 row_newbcast:0 row_mask:0xf bank_mask:0xf// 000000010930: 0A6808FA FF01509C
	v_mul_f32_dpp v53, v156, v5 row_newbcast:1 row_mask:0xf bank_mask:0xf// 000000010938: 0A6A0AFA FF01519C
	v_mul_f32_dpp v54, v156, v6 row_newbcast:2 row_mask:0xf bank_mask:0xf// 000000010940: 0A6C0CFA FF01529C
	v_mul_f32_dpp v55, v156, v7 row_newbcast:3 row_mask:0xf bank_mask:0xf// 000000010948: 0A6E0EFA FF01539C
	v_mul_f32_dpp v56, v156, v8 row_newbcast:4 row_mask:0xf bank_mask:0xf// 000000010950: 0A7010FA FF01549C
	v_mul_f32_dpp v57, v156, v9 row_newbcast:5 row_mask:0xf bank_mask:0xf// 000000010958: 0A7212FA FF01559C
	v_mul_f32_dpp v58, v156, v10 row_newbcast:6 row_mask:0xf bank_mask:0xf// 000000010960: 0A7414FA FF01569C
	v_mul_f32_dpp v59, v156, v11 row_newbcast:7 row_mask:0xf bank_mask:0xf// 000000010968: 0A7616FA FF01579C
	v_mul_f32_dpp v60, v156, v12 row_newbcast:8 row_mask:0xf bank_mask:0xf// 000000010970: 0A7818FA FF01589C
	v_mul_f32_dpp v61, v156, v13 row_newbcast:9 row_mask:0xf bank_mask:0xf// 000000010978: 0A7A1AFA FF01599C
	v_mul_f32_dpp v62, v156, v14 row_newbcast:10 row_mask:0xf bank_mask:0xf// 000000010980: 0A7C1CFA FF015A9C
	v_mul_f32_dpp v63, v156, v15 row_newbcast:11 row_mask:0xf bank_mask:0xf// 000000010988: 0A7E1EFA FF015B9C
	v_mul_f32_dpp v64, v156, v16 row_newbcast:12 row_mask:0xf bank_mask:0xf// 000000010990: 0A8020FA FF015C9C
	v_mul_f32_dpp v65, v156, v17 row_newbcast:13 row_mask:0xf bank_mask:0xf// 000000010998: 0A8222FA FF015D9C
	v_mul_f32_dpp v66, v156, v18 row_newbcast:14 row_mask:0xf bank_mask:0xf// 0000000109A0: 0A8424FA FF015E9C
	v_mul_f32_dpp v67, v156, v19 row_newbcast:15 row_mask:0xf bank_mask:0xf// 0000000109A8: 0A8626FA FF015F9C
	v_mul_f32_dpp v68, v156, v20 row_newbcast:0 row_mask:0xf bank_mask:0xf// 0000000109B0: 0A8828FA FF01509C
	v_mul_f32_dpp v69, v156, v21 row_newbcast:1 row_mask:0xf bank_mask:0xf// 0000000109B8: 0A8A2AFA FF01519C
	v_mul_f32_dpp v70, v156, v22 row_newbcast:2 row_mask:0xf bank_mask:0xf// 0000000109C0: 0A8C2CFA FF01529C
	v_mul_f32_dpp v71, v156, v23 row_newbcast:3 row_mask:0xf bank_mask:0xf// 0000000109C8: 0A8E2EFA FF01539C
	v_mul_f32_dpp v72, v156, v24 row_newbcast:4 row_mask:0xf bank_mask:0xf// 0000000109D0: 0A9030FA FF01549C
	v_mul_f32_dpp v73, v156, v25 row_newbcast:5 row_mask:0xf bank_mask:0xf// 0000000109D8: 0A9232FA FF01559C
	v_mul_f32_dpp v74, v156, v26 row_newbcast:6 row_mask:0xf bank_mask:0xf// 0000000109E0: 0A9434FA FF01569C
	v_mul_f32_dpp v75, v156, v27 row_newbcast:7 row_mask:0xf bank_mask:0xf// 0000000109E8: 0A9636FA FF01579C
	v_mul_f32_dpp v76, v156, v28 row_newbcast:8 row_mask:0xf bank_mask:0xf// 0000000109F0: 0A9838FA FF01589C
	v_mul_f32_dpp v77, v156, v29 row_newbcast:9 row_mask:0xf bank_mask:0xf// 0000000109F8: 0A9A3AFA FF01599C
	v_mul_f32_dpp v78, v156, v30 row_newbcast:10 row_mask:0xf bank_mask:0xf// 000000010A00: 0A9C3CFA FF015A9C
	v_mul_f32_dpp v79, v156, v31 row_newbcast:11 row_mask:0xf bank_mask:0xf// 000000010A08: 0A9E3EFA FF015B9C
	v_mul_f32_dpp v80, v156, v32 row_newbcast:12 row_mask:0xf bank_mask:0xf// 000000010A10: 0AA040FA FF015C9C
	v_mul_f32_dpp v81, v156, v33 row_newbcast:13 row_mask:0xf bank_mask:0xf// 000000010A18: 0AA242FA FF015D9C
	v_mul_f32_dpp v82, v156, v34 row_newbcast:14 row_mask:0xf bank_mask:0xf// 000000010A20: 0AA444FA FF015E9C
	v_mul_f32_dpp v83, v156, v35 row_newbcast:15 row_mask:0xf bank_mask:0xf// 000000010A28: 0AA646FA FF015F9C
	v_mul_f32_dpp v84, v166, v36 quad_perm:[0,0,0,0] row_mask:0xf bank_mask:0xf// 000000010A30: 0AA848FA FF0000A6
	v_mul_f32_dpp v85, v166, v37 quad_perm:[1,1,1,1] row_mask:0xf bank_mask:0xf// 000000010A38: 0AAA4AFA FF0055A6
	v_mul_f32_dpp v86, v166, v38 quad_perm:[2,2,2,2] row_mask:0xf bank_mask:0xf// 000000010A40: 0AAC4CFA FF00AAA6
	v_mul_f32_dpp v87, v166, v39 quad_perm:[3,3,3,3] row_mask:0xf bank_mask:0xf// 000000010A48: 0AAE4EFA FF00FFA6
	v_mul_f32_dpp v88, v167, v40 quad_perm:[0,0,0,0] row_mask:0xf bank_mask:0xf// 000000010A50: 0AB050FA FF0000A7
	v_mul_f32_dpp v89, v167, v41 quad_perm:[1,1,1,1] row_mask:0xf bank_mask:0xf// 000000010A58: 0AB252FA FF0055A7
	v_mul_f32_dpp v90, v167, v42 quad_perm:[2,2,2,2] row_mask:0xf bank_mask:0xf// 000000010A60: 0AB454FA FF00AAA7
	v_mul_f32_dpp v91, v167, v43 quad_perm:[3,3,3,3] row_mask:0xf bank_mask:0xf// 000000010A68: 0AB656FA FF00FFA7
	v_add_u32_e32 v168, s64, v222                              // 000000010A70: 6951BC40
	v_add_u32_e32 v169, 0, v168                                // 000000010A74: 69535080
	v_cmp_lt_u32_e32 vcc, v169, v219                           // 000000010A78: 7D93B7A9
	s_nop 0                                                    // 000000010A7C: BF800000
	v_cndmask_b32_e32 v52, 0, v52, vcc                         // 000000010A80: 00686880
	v_add_u32_e32 v169, 1, v168                                // 000000010A84: 69535081
	v_cmp_lt_u32_e32 vcc, v169, v219                           // 000000010A88: 7D93B7A9
	s_nop 0                                                    // 000000010A8C: BF800000
	v_cndmask_b32_e32 v53, 0, v53, vcc                         // 000000010A90: 006A6A80
	v_add_u32_e32 v169, 2, v168                                // 000000010A94: 69535082
	v_cmp_lt_u32_e32 vcc, v169, v219                           // 000000010A98: 7D93B7A9
	s_nop 0                                                    // 000000010A9C: BF800000
	v_cndmask_b32_e32 v54, 0, v54, vcc                         // 000000010AA0: 006C6C80
	v_add_u32_e32 v169, 3, v168                                // 000000010AA4: 69535083
	v_cmp_lt_u32_e32 vcc, v169, v219                           // 000000010AA8: 7D93B7A9
	s_nop 0                                                    // 000000010AAC: BF800000
	v_cndmask_b32_e32 v55, 0, v55, vcc                         // 000000010AB0: 006E6E80
	v_add_u32_e32 v169, 64, v168                               // 000000010AB4: 695350C0
	v_cmp_lt_u32_e32 vcc, v169, v219                           // 000000010AB8: 7D93B7A9
	s_nop 0                                                    // 000000010ABC: BF800000
	v_cndmask_b32_e32 v56, 0, v56, vcc                         // 000000010AC0: 00707080
	v_add_u32_e32 v169, 0x41, v168                             // 000000010AC4: 695350FF 00000041
	v_cmp_lt_u32_e32 vcc, v169, v219                           // 000000010ACC: 7D93B7A9
	s_nop 0                                                    // 000000010AD0: BF800000
	v_cndmask_b32_e32 v57, 0, v57, vcc                         // 000000010AD4: 00727280
	v_add_u32_e32 v169, 0x42, v168                             // 000000010AD8: 695350FF 00000042
	v_cmp_lt_u32_e32 vcc, v169, v219                           // 000000010AE0: 7D93B7A9
	s_nop 0                                                    // 000000010AE4: BF800000
	v_cndmask_b32_e32 v58, 0, v58, vcc                         // 000000010AE8: 00747480
	v_add_u32_e32 v169, 0x43, v168                             // 000000010AEC: 695350FF 00000043
	v_cmp_lt_u32_e32 vcc, v169, v219                           // 000000010AF4: 7D93B7A9
	s_nop 0                                                    // 000000010AF8: BF800000
	v_cndmask_b32_e32 v59, 0, v59, vcc                         // 000000010AFC: 00767680
	v_add_u32_e32 v169, 0x80, v168                             // 000000010B00: 695350FF 00000080
	v_cmp_lt_u32_e32 vcc, v169, v219                           // 000000010B08: 7D93B7A9
	s_nop 0                                                    // 000000010B0C: BF800000
	v_cndmask_b32_e32 v60, 0, v60, vcc                         // 000000010B10: 00787880
	v_add_u32_e32 v169, 0x81, v168                             // 000000010B14: 695350FF 00000081
	v_cmp_lt_u32_e32 vcc, v169, v219                           // 000000010B1C: 7D93B7A9
	s_nop 0                                                    // 000000010B20: BF800000
	v_cndmask_b32_e32 v61, 0, v61, vcc                         // 000000010B24: 007A7A80
	v_add_u32_e32 v169, 0x82, v168                             // 000000010B28: 695350FF 00000082
	v_cmp_lt_u32_e32 vcc, v169, v219                           // 000000010B30: 7D93B7A9
	s_nop 0                                                    // 000000010B34: BF800000
	v_cndmask_b32_e32 v62, 0, v62, vcc                         // 000000010B38: 007C7C80
	v_add_u32_e32 v169, 0x83, v168                             // 000000010B3C: 695350FF 00000083
	v_cmp_lt_u32_e32 vcc, v169, v219                           // 000000010B44: 7D93B7A9
	s_nop 0                                                    // 000000010B48: BF800000
	v_cndmask_b32_e32 v63, 0, v63, vcc                         // 000000010B4C: 007E7E80
	v_add_u32_e32 v169, 0xc0, v168                             // 000000010B50: 695350FF 000000C0
	v_cmp_lt_u32_e32 vcc, v169, v219                           // 000000010B58: 7D93B7A9
	s_nop 0                                                    // 000000010B5C: BF800000
	v_cndmask_b32_e32 v64, 0, v64, vcc                         // 000000010B60: 00808080
	v_add_u32_e32 v169, 0xc1, v168                             // 000000010B64: 695350FF 000000C1
	v_cmp_lt_u32_e32 vcc, v169, v219                           // 000000010B6C: 7D93B7A9
	s_nop 0                                                    // 000000010B70: BF800000
	v_cndmask_b32_e32 v65, 0, v65, vcc                         // 000000010B74: 00828280
	v_add_u32_e32 v169, 0xc2, v168                             // 000000010B78: 695350FF 000000C2
	v_cmp_lt_u32_e32 vcc, v169, v219                           // 000000010B80: 7D93B7A9
	s_nop 0                                                    // 000000010B84: BF800000
	v_cndmask_b32_e32 v66, 0, v66, vcc                         // 000000010B88: 00848480
	v_add_u32_e32 v169, 0xc3, v168                             // 000000010B8C: 695350FF 000000C3
	v_cmp_lt_u32_e32 vcc, v169, v219                           // 000000010B94: 7D93B7A9
	s_nop 0                                                    // 000000010B98: BF800000
	v_cndmask_b32_e32 v67, 0, v67, vcc                         // 000000010B9C: 00868680
	v_add_u32_e32 v169, 0, v168                                // 000000010BA0: 69535080
	v_cmp_lt_u32_e32 vcc, v169, v220                           // 000000010BA4: 7D93B9A9
	s_nop 0                                                    // 000000010BA8: BF800000
	v_cndmask_b32_e32 v68, 0, v68, vcc                         // 000000010BAC: 00888880
	v_add_u32_e32 v169, 1, v168                                // 000000010BB0: 69535081
	v_cmp_lt_u32_e32 vcc, v169, v220                           // 000000010BB4: 7D93B9A9
	s_nop 0                                                    // 000000010BB8: BF800000
	v_cndmask_b32_e32 v69, 0, v69, vcc                         // 000000010BBC: 008A8A80
	v_add_u32_e32 v169, 2, v168                                // 000000010BC0: 69535082
	v_cmp_lt_u32_e32 vcc, v169, v220                           // 000000010BC4: 7D93B9A9
	s_nop 0                                                    // 000000010BC8: BF800000
	v_cndmask_b32_e32 v70, 0, v70, vcc                         // 000000010BCC: 008C8C80
	v_add_u32_e32 v169, 3, v168                                // 000000010BD0: 69535083
	v_cmp_lt_u32_e32 vcc, v169, v220                           // 000000010BD4: 7D93B9A9
	s_nop 0                                                    // 000000010BD8: BF800000
	v_cndmask_b32_e32 v71, 0, v71, vcc                         // 000000010BDC: 008E8E80
	v_add_u32_e32 v169, 64, v168                               // 000000010BE0: 695350C0
	v_cmp_lt_u32_e32 vcc, v169, v220                           // 000000010BE4: 7D93B9A9
	s_nop 0                                                    // 000000010BE8: BF800000
	v_cndmask_b32_e32 v72, 0, v72, vcc                         // 000000010BEC: 00909080
	v_add_u32_e32 v169, 0x41, v168                             // 000000010BF0: 695350FF 00000041
	v_cmp_lt_u32_e32 vcc, v169, v220                           // 000000010BF8: 7D93B9A9
	s_nop 0                                                    // 000000010BFC: BF800000
	v_cndmask_b32_e32 v73, 0, v73, vcc                         // 000000010C00: 00929280
	v_add_u32_e32 v169, 0x42, v168                             // 000000010C04: 695350FF 00000042
	v_cmp_lt_u32_e32 vcc, v169, v220                           // 000000010C0C: 7D93B9A9
	s_nop 0                                                    // 000000010C10: BF800000
	v_cndmask_b32_e32 v74, 0, v74, vcc                         // 000000010C14: 00949480
	v_add_u32_e32 v169, 0x43, v168                             // 000000010C18: 695350FF 00000043
	v_cmp_lt_u32_e32 vcc, v169, v220                           // 000000010C20: 7D93B9A9
	s_nop 0                                                    // 000000010C24: BF800000
	v_cndmask_b32_e32 v75, 0, v75, vcc                         // 000000010C28: 00969680
	v_add_u32_e32 v169, 0x80, v168                             // 000000010C2C: 695350FF 00000080
	v_cmp_lt_u32_e32 vcc, v169, v220                           // 000000010C34: 7D93B9A9
	s_nop 0                                                    // 000000010C38: BF800000
	v_cndmask_b32_e32 v76, 0, v76, vcc                         // 000000010C3C: 00989880
	v_add_u32_e32 v169, 0x81, v168                             // 000000010C40: 695350FF 00000081
	v_cmp_lt_u32_e32 vcc, v169, v220                           // 000000010C48: 7D93B9A9
	s_nop 0                                                    // 000000010C4C: BF800000
	v_cndmask_b32_e32 v77, 0, v77, vcc                         // 000000010C50: 009A9A80
	v_add_u32_e32 v169, 0x82, v168                             // 000000010C54: 695350FF 00000082
	v_cmp_lt_u32_e32 vcc, v169, v220                           // 000000010C5C: 7D93B9A9
	s_nop 0                                                    // 000000010C60: BF800000
	v_cndmask_b32_e32 v78, 0, v78, vcc                         // 000000010C64: 009C9C80
	v_add_u32_e32 v169, 0x83, v168                             // 000000010C68: 695350FF 00000083
	v_cmp_lt_u32_e32 vcc, v169, v220                           // 000000010C70: 7D93B9A9
	s_nop 0                                                    // 000000010C74: BF800000
	v_cndmask_b32_e32 v79, 0, v79, vcc                         // 000000010C78: 009E9E80
	v_add_u32_e32 v169, 0xc0, v168                             // 000000010C7C: 695350FF 000000C0
	v_cmp_lt_u32_e32 vcc, v169, v220                           // 000000010C84: 7D93B9A9
	s_nop 0                                                    // 000000010C88: BF800000
	v_cndmask_b32_e32 v80, 0, v80, vcc                         // 000000010C8C: 00A0A080
	v_add_u32_e32 v169, 0xc1, v168                             // 000000010C90: 695350FF 000000C1
	v_cmp_lt_u32_e32 vcc, v169, v220                           // 000000010C98: 7D93B9A9
	s_nop 0                                                    // 000000010C9C: BF800000
	v_cndmask_b32_e32 v81, 0, v81, vcc                         // 000000010CA0: 00A2A280
	v_add_u32_e32 v169, 0xc2, v168                             // 000000010CA4: 695350FF 000000C2
	v_cmp_lt_u32_e32 vcc, v169, v220                           // 000000010CAC: 7D93B9A9
	s_nop 0                                                    // 000000010CB0: BF800000
	v_cndmask_b32_e32 v82, 0, v82, vcc                         // 000000010CB4: 00A4A480
	v_add_u32_e32 v169, 0xc3, v168                             // 000000010CB8: 695350FF 000000C3
	v_cmp_lt_u32_e32 vcc, v169, v220                           // 000000010CC0: 7D93B9A9
	s_nop 0                                                    // 000000010CC4: BF800000
	v_cndmask_b32_e32 v83, 0, v83, vcc                         // 000000010CC8: 00A6A680
	v_add_u32_e32 v168, s64, v223                              // 000000010CCC: 6951BE40
	v_add_u32_e32 v169, 0, v168                                // 000000010CD0: 69535080
	v_cmp_lt_u32_e32 vcc, v169, v221                           // 000000010CD4: 7D93BBA9
	s_nop 0                                                    // 000000010CD8: BF800000
	v_cndmask_b32_e32 v84, 0, v84, vcc                         // 000000010CDC: 00A8A880
	v_add_u32_e32 v169, 1, v168                                // 000000010CE0: 69535081
	v_cmp_lt_u32_e32 vcc, v169, v221                           // 000000010CE4: 7D93BBA9
	s_nop 0                                                    // 000000010CE8: BF800000
	v_cndmask_b32_e32 v85, 0, v85, vcc                         // 000000010CEC: 00AAAA80
	v_add_u32_e32 v169, 2, v168                                // 000000010CF0: 69535082
	v_cmp_lt_u32_e32 vcc, v169, v221                           // 000000010CF4: 7D93BBA9
	s_nop 0                                                    // 000000010CF8: BF800000
	v_cndmask_b32_e32 v86, 0, v86, vcc                         // 000000010CFC: 00ACAC80
	v_add_u32_e32 v169, 3, v168                                // 000000010D00: 69535083
	v_cmp_lt_u32_e32 vcc, v169, v221                           // 000000010D04: 7D93BBA9
	s_nop 0                                                    // 000000010D08: BF800000
	v_cndmask_b32_e32 v87, 0, v87, vcc                         // 000000010D0C: 00AEAE80
	v_add_u32_e32 v169, 64, v168                               // 000000010D10: 695350C0
	v_cmp_lt_u32_e32 vcc, v169, v221                           // 000000010D14: 7D93BBA9
	s_nop 0                                                    // 000000010D18: BF800000
	v_cndmask_b32_e32 v88, 0, v88, vcc                         // 000000010D1C: 00B0B080
	v_add_u32_e32 v169, 0x41, v168                             // 000000010D20: 695350FF 00000041
	v_cmp_lt_u32_e32 vcc, v169, v221                           // 000000010D28: 7D93BBA9
	s_nop 0                                                    // 000000010D2C: BF800000
	v_cndmask_b32_e32 v89, 0, v89, vcc                         // 000000010D30: 00B2B280
	v_add_u32_e32 v169, 0x42, v168                             // 000000010D34: 695350FF 00000042
	v_cmp_lt_u32_e32 vcc, v169, v221                           // 000000010D3C: 7D93BBA9
	s_nop 0                                                    // 000000010D40: BF800000
	v_cndmask_b32_e32 v90, 0, v90, vcc                         // 000000010D44: 00B4B480
	v_add_u32_e32 v169, 0x43, v168                             // 000000010D48: 695350FF 00000043
	v_cmp_lt_u32_e32 vcc, v169, v221                           // 000000010D50: 7D93BBA9
	s_nop 0                                                    // 000000010D54: BF800000
	v_cndmask_b32_e32 v91, 0, v91, vcc                         // 000000010D58: 00B6B680
	v_mov_b32_e32 v190, 0x358637bd                             // 000000010D5C: 7F7C02FF 358637BD
	v_max3_f32 v190, |v84|, |v85|, v190                        // 000000010D64: D1D303BE 06FAAB54
	v_max3_f32 v190, |v86|, |v87|, v190                        // 000000010D6C: D1D303BE 06FAAF56
	v_max3_f32 v190, |v88|, |v89|, v190                        // 000000010D74: D1D303BE 06FAB358
	v_max3_f32 v190, |v90|, |v91|, v190                        // 000000010D7C: D1D303BE 06FAB75A
	v_mov_b32_e32 v189, 0x358637bd                             // 000000010D84: 7F7A02FF 358637BD
	v_max3_f32 v189, |v68|, |v69|, v189                        // 000000010D8C: D1D303BD 06F68B44
	v_max3_f32 v189, |v70|, |v71|, v189                        // 000000010D94: D1D303BD 06F68F46
	v_max3_f32 v189, |v72|, |v73|, v189                        // 000000010D9C: D1D303BD 06F69348
	v_max3_f32 v189, |v74|, |v75|, v189                        // 000000010DA4: D1D303BD 06F6974A
	v_max3_f32 v189, |v76|, |v77|, v189                        // 000000010DAC: D1D303BD 06F69B4C
	v_max3_f32 v189, |v78|, |v79|, v189                        // 000000010DB4: D1D303BD 06F69F4E
	v_max3_f32 v189, |v80|, |v81|, v189                        // 000000010DBC: D1D303BD 06F6A350
	v_max3_f32 v189, |v82|, |v83|, v189                        // 000000010DC4: D1D303BD 06F6A752
	v_mov_b32_e32 v188, 0x358637bd                             // 000000010DCC: 7F7802FF 358637BD
	v_max3_f32 v188, |v52|, |v53|, v188                        // 000000010DD4: D1D303BC 06F26B34
	v_max3_f32 v188, |v54|, |v55|, v188                        // 000000010DDC: D1D303BC 06F26F36
	v_max3_f32 v188, |v56|, |v57|, v188                        // 000000010DE4: D1D303BC 06F27338
	v_max3_f32 v188, |v58|, |v59|, v188                        // 000000010DEC: D1D303BC 06F2773A
	v_max3_f32 v188, |v60|, |v61|, v188                        // 000000010DF4: D1D303BC 06F27B3C
	v_max3_f32 v188, |v62|, |v63|, v188                        // 000000010DFC: D1D303BC 06F27F3E
	v_max3_f32 v188, |v64|, |v65|, v188                        // 000000010E04: D1D303BC 06F28340
	v_max3_f32 v188, |v66|, |v67|, v188                        // 000000010E0C: D1D303BC 06F28742
	v_max_f32_dpp v190, v190, v190 row_ror:8 row_mask:0xf bank_mask:0xf// 000000010E14: 177D7CFA FF0128BE
	ds_bpermute_b32 v172, v212, v188                           // 000000010E1C: D87E0000 AC00BCD4
	ds_bpermute_b32 v173, v213, v188                           // 000000010E24: D87E0000 AD00BCD5
	ds_bpermute_b32 v174, v214, v188                           // 000000010E2C: D87E0000 AE00BCD6
	ds_bpermute_b32 v175, v212, v189                           // 000000010E34: D87E0000 AF00BDD4
	ds_bpermute_b32 v176, v213, v189                           // 000000010E3C: D87E0000 B000BDD5
	ds_bpermute_b32 v177, v214, v189                           // 000000010E44: D87E0000 B100BDD6
	ds_bpermute_b32 v178, v212, v190                           // 000000010E4C: D87E0000 B200BED4
	ds_bpermute_b32 v179, v213, v190                           // 000000010E54: D87E0000 B300BED5
	ds_bpermute_b32 v180, v214, v190                           // 000000010E5C: D87E0000 B400BED6
	s_waitcnt lgkmcnt(6)                                       // 000000010E64: BF8CC67F
	v_max3_f32 v188, v172, v173, v188                          // 000000010E68: D1D300BC 06F35BAC
	v_max_f32_e32 v188, v174, v188                             // 000000010E70: 177979AE
	s_waitcnt lgkmcnt(3)                                       // 000000010E74: BF8CC37F
	v_max3_f32 v189, v175, v176, v189                          // 000000010E78: D1D300BD 06F761AF
	v_max_f32_e32 v189, v177, v189                             // 000000010E80: 177B7BB1
	s_waitcnt lgkmcnt(0)                                       // 000000010E84: BF8CC07F
	v_max3_f32 v190, v178, v179, v190                          // 000000010E88: D1D300BE 06FB67B2
	v_max_f32_e32 v190, v180, v190                             // 000000010E90: 177D7DB4
	ds_write_b128 v252, v[188:191] offset:4096                 // 000000010E94: D9BE1000 0000BCFC
	buffer_load_dword v155, v238, s[20:23], 0 offen            // 000000010E9C: E0501000 80059BEE
	v_sub_f32_e32 v200, v194, v197                             // 000000010EA4: 05918BC2
	v_cmp_eq_u32_e64 s[98:99], v225, v194                      // 000000010EA8: D0CA0062 000385E1
	v_cndmask_b32_e64 v200, v200, 0, s[98:99]                  // 000000010EB0: D10000C8 018901C8
	v_mov_b32_e32 v194, v197                                   // 000000010EB8: 7F8403C5
	v_mul_f32_e32 v200, s46, v200                              // 000000010EBC: 0B91902E
	v_exp_f32_e32 v200, v200                                   // 000000010EC0: 7F9041C8
	v_sub_f32_e32 v202, v195, v198                             // 000000010EC4: 05958DC3
	v_cmp_eq_u32_e64 s[98:99], v225, v195                      // 000000010EC8: D0CA0062 000387E1
	v_cndmask_b32_e64 v202, v202, 0, s[98:99]                  // 000000010ED0: D10000CA 018901CA
	v_mov_b32_e32 v195, v198                                   // 000000010ED8: 7F8603C6
	v_mul_f32_e32 v202, s46, v202                              // 000000010EDC: 0B95942E
	v_exp_f32_e32 v202, v202                                   // 000000010EE0: 7F9441CA
	v_sub_f32_e32 v204, v196, v199                             // 000000010EE4: 05998FC4
	v_cmp_eq_u32_e64 s[98:99], v225, v196                      // 000000010EE8: D0CA0062 000389E1
	v_cndmask_b32_e64 v204, v204, 0, s[98:99]                  // 000000010EF0: D10000CC 018901CC
	v_mov_b32_e32 v196, v199                                   // 000000010EF8: 7F8803C7
	v_mul_f32_e32 v204, s46, v204                              // 000000010EFC: 0B99982E
	v_exp_f32_e32 v204, v204                                   // 000000010F00: 7F9841CC
	v_mov_b32_e32 v201, v200                                   // 000000010F04: 7F9203C8
	v_mov_b32_e32 v203, v202                                   // 000000010F08: 7F9603CA
	v_mov_b32_e32 v205, v204                                   // 000000010F0C: 7F9A03CC
	s_waitcnt lgkmcnt(0)                                       // 000000010F10: BF8CC07F
	s_barrier                                                  // 000000010F14: BF8A0000
	ds_read_b128 v[172:175], v253 offset:4096                  // 000000010F18: D9FE1000 AC0000FD
	ds_read_b128 v[176:179], v253 offset:4352                  // 000000010F20: D9FE1100 B00000FD
	ds_read_b128 v[180:183], v253 offset:4608                  // 000000010F28: D9FE1200 B40000FD
	ds_read_b128 v[184:187], v253 offset:4864                  // 000000010F30: D9FE1300 B80000FD
	buffer_load_dword v157, v239, s[24:27], 0 offen            // 000000010F38: E0501000 80069DEF
	v_mul_f32_e32 v206, v200, v206                             // 000000010F40: 0B9D9DC8
	v_mov_b32_e32 v207, 0                                      // 000000010F44: 7F9E0280
	v_pk_add_f32 v[206:207], v[4:5], v[206:207]                // 000000010F48: D3B240CE 18039D04
	v_pk_add_f32 v[206:207], v[6:7], v[206:207]                // 000000010F50: D3B240CE 18039D06
	v_pk_add_f32 v[206:207], v[8:9], v[206:207]                // 000000010F58: D3B240CE 18039D08
	v_pk_add_f32 v[206:207], v[10:11], v[206:207]              // 000000010F60: D3B240CE 18039D0A
	v_pk_add_f32 v[206:207], v[12:13], v[206:207]              // 000000010F68: D3B240CE 18039D0C
	v_pk_add_f32 v[206:207], v[14:15], v[206:207]              // 000000010F70: D3B240CE 18039D0E
	v_pk_add_f32 v[206:207], v[16:17], v[206:207]              // 000000010F78: D3B240CE 18039D10
	v_pk_add_f32 v[206:207], v[18:19], v[206:207]              // 000000010F80: D3B240CE 18039D12
	v_add_f32_e32 v206, v207, v206                             // 000000010F88: 039D9DCF
	v_mul_f32_e32 v208, v202, v208                             // 000000010F8C: 0BA1A1CA
	v_mov_b32_e32 v209, 0                                      // 000000010F90: 7FA20280
	v_pk_add_f32 v[208:209], v[20:21], v[208:209]              // 000000010F94: D3B240D0 1803A114
	v_pk_add_f32 v[208:209], v[22:23], v[208:209]              // 000000010F9C: D3B240D0 1803A116
	v_pk_add_f32 v[208:209], v[24:25], v[208:209]              // 000000010FA4: D3B240D0 1803A118
	v_pk_add_f32 v[208:209], v[26:27], v[208:209]              // 000000010FAC: D3B240D0 1803A11A
	v_pk_add_f32 v[208:209], v[28:29], v[208:209]              // 000000010FB4: D3B240D0 1803A11C
	v_pk_add_f32 v[208:209], v[30:31], v[208:209]              // 000000010FBC: D3B240D0 1803A11E
	v_pk_add_f32 v[208:209], v[32:33], v[208:209]              // 000000010FC4: D3B240D0 1803A120
	v_pk_add_f32 v[208:209], v[34:35], v[208:209]              // 000000010FCC: D3B240D0 1803A122
	v_add_f32_e32 v208, v209, v208                             // 000000010FD4: 03A1A1D1
	v_mul_f32_e32 v210, v204, v210                             // 000000010FD8: 0BA5A5CC
	v_mov_b32_e32 v211, 0                                      // 000000010FDC: 7FA60280
	v_pk_add_f32 v[210:211], v[36:37], v[210:211]              // 000000010FE0: D3B240D2 1803A524
	v_pk_add_f32 v[210:211], v[38:39], v[210:211]              // 000000010FE8: D3B240D2 1803A526
	v_pk_add_f32 v[210:211], v[40:41], v[210:211]              // 000000010FF0: D3B240D2 1803A528
	v_pk_add_f32 v[210:211], v[42:43], v[210:211]              // 000000010FF8: D3B240D2 1803A52A
	v_add_f32_e32 v210, v211, v210                             // 000000011000: 03A5A5D3
	s_waitcnt lgkmcnt(0)                                       // 000000011004: BF8CC07F
	v_max3_f32 v188, v172, v176, v188                          // 000000011008: D1D300BC 06F361AC
	v_max3_f32 v189, v173, v177, v189                          // 000000011010: D1D300BD 06F763AD
	v_max3_f32 v190, v174, v178, v190                          // 000000011018: D1D300BE 06FB65AE
	v_max3_f32 v188, v180, v184, v188                          // 000000011020: D1D300BC 06F371B4
	v_max3_f32 v189, v181, v185, v189                          // 000000011028: D1D300BD 06F773B5
	v_max3_f32 v190, v182, v186, v190                          // 000000011030: D1D300BE 06FB75B6
	v_rcp_f32_e32 v188, v188                                   // 000000011038: 7F7845BC
	v_rcp_f32_e32 v189, v189                                   // 00000001103C: 7F7A45BD
	v_rcp_f32_e32 v190, v190                                   // 000000011040: 7F7C45BE
	v_mul_f32_e32 v188, 0x43700000, v188                       // 000000011044: 0B7978FF 43700000
	v_mul_f32_e32 v189, 0x43700000, v189                       // 00000001104C: 0B7B7AFF 43700000
	v_mul_f32_e32 v190, 0x43700000, v190                       // 000000011054: 0B7D7CFF 43700000
	v_mov_b32_e32 v192, v190                                   // 00000001105C: 7F8003BE
	v_mov_b32_e32 v193, v190                                   // 000000011060: 7F8203BE
	v_mov_b32_e32 v190, v189                                   // 000000011064: 7F7C03BD
	v_mov_b32_e32 v191, v189                                   // 000000011068: 7F7E03BD
	v_mov_b32_e32 v189, v188                                   // 00000001106C: 7F7A03BC
	v_pk_mul_f32 v[4:5], v[188:189], v[52:53]                  // 000000011070: D3B14004 180269BC
	v_pk_mul_f32 v[6:7], v[188:189], v[54:55]                  // 000000011078: D3B14006 18026DBC
	v_pk_mul_f32 v[8:9], v[188:189], v[56:57]                  // 000000011080: D3B14008 180271BC
	v_pk_mul_f32 v[10:11], v[188:189], v[58:59]                // 000000011088: D3B1400A 180275BC
	v_pk_mul_f32 v[12:13], v[188:189], v[60:61]                // 000000011090: D3B1400C 180279BC
	v_pk_mul_f32 v[14:15], v[188:189], v[62:63]                // 000000011098: D3B1400E 18027DBC
	v_pk_mul_f32 v[16:17], v[188:189], v[64:65]                // 0000000110A0: D3B14010 180281BC
	v_pk_mul_f32 v[18:19], v[188:189], v[66:67]                // 0000000110A8: D3B14012 180285BC
	v_pk_mul_f32 v[20:21], v[190:191], v[68:69]                // 0000000110B0: D3B14014 180289BE
	v_pk_mul_f32 v[22:23], v[190:191], v[70:71]                // 0000000110B8: D3B14016 18028DBE
	v_pk_mul_f32 v[24:25], v[190:191], v[72:73]                // 0000000110C0: D3B14018 180291BE
	v_pk_mul_f32 v[26:27], v[190:191], v[74:75]                // 0000000110C8: D3B1401A 180295BE
	v_pk_mul_f32 v[28:29], v[190:191], v[76:77]                // 0000000110D0: D3B1401C 180299BE
	v_pk_mul_f32 v[30:31], v[190:191], v[78:79]                // 0000000110D8: D3B1401E 18029DBE
	v_pk_mul_f32 v[32:33], v[190:191], v[80:81]                // 0000000110E0: D3B14020 1802A1BE
	v_pk_mul_f32 v[34:35], v[190:191], v[82:83]                // 0000000110E8: D3B14022 1802A5BE
	v_pk_mul_f32 v[36:37], v[192:193], v[84:85]                // 0000000110F0: D3B14024 1802A9C0
	v_pk_mul_f32 v[38:39], v[192:193], v[86:87]                // 0000000110F8: D3B14026 1802ADC0
	v_pk_mul_f32 v[40:41], v[192:193], v[88:89]                // 000000011100: D3B14028 1802B1C0
	v_pk_mul_f32 v[42:43], v[192:193], v[90:91]                // 000000011108: D3B1402A 1802B5C0
	v_cvt_pk_fp8_f32 v4, v4, v5                                // 000000011110: D2A20004 00020B04
	v_cvt_pk_fp8_f32 v4, v6, v7 op_sel:[0,0,1]                 // 000000011118: D2A24004 00020F06
	v_cvt_pk_fp8_f32 v5, v8, v9                                // 000000011120: D2A20005 00021308
	v_cvt_pk_fp8_f32 v5, v10, v11 op_sel:[0,0,1]               // 000000011128: D2A24005 0002170A
	v_cvt_pk_fp8_f32 v6, v12, v13                              // 000000011130: D2A20006 00021B0C
	v_cvt_pk_fp8_f32 v6, v14, v15 op_sel:[0,0,1]               // 000000011138: D2A24006 00021F0E
	v_cvt_pk_fp8_f32 v7, v16, v17                              // 000000011140: D2A20007 00022310
	v_cvt_pk_fp8_f32 v7, v18, v19 op_sel:[0,0,1]               // 000000011148: D2A24007 00022712
	v_cvt_pk_fp8_f32 v8, v20, v21                              // 000000011150: D2A20008 00022B14
	v_cvt_pk_fp8_f32 v8, v22, v23 op_sel:[0,0,1]               // 000000011158: D2A24008 00022F16
	v_cvt_pk_fp8_f32 v9, v24, v25                              // 000000011160: D2A20009 00023318
	v_cvt_pk_fp8_f32 v9, v26, v27 op_sel:[0,0,1]               // 000000011168: D2A24009 0002371A
	v_cvt_pk_fp8_f32 v10, v28, v29                             // 000000011170: D2A2000A 00023B1C
	v_cvt_pk_fp8_f32 v10, v30, v31 op_sel:[0,0,1]              // 000000011178: D2A2400A 00023F1E
	v_cvt_pk_fp8_f32 v11, v32, v33                             // 000000011180: D2A2000B 00024320
	v_cvt_pk_fp8_f32 v11, v34, v35 op_sel:[0,0,1]              // 000000011188: D2A2400B 00024722
	v_cvt_pk_fp8_f32 v12, v36, v37                             // 000000011190: D2A2000C 00024B24
	v_cvt_pk_fp8_f32 v12, v38, v39 op_sel:[0,0,1]              // 000000011198: D2A2400C 00024F26
	v_cvt_pk_fp8_f32 v13, v40, v41                             // 0000000111A0: D2A2000D 00025328
	v_cvt_pk_fp8_f32 v13, v42, v43 op_sel:[0,0,1]              // 0000000111A8: D2A2400D 0002572A
	v_mov_b32_dpp v14, v12 row_shl:8 row_mask:0xf bank_mask:0xf bound_ctrl:1// 0000000111B0: 7E1C02FA FF09080C
	v_and_b32_e32 v12, v12, v224                               // 0000000111B8: 2619C10C
	v_mov_b32_dpp v15, v13 row_shl:8 row_mask:0xf bank_mask:0xf bound_ctrl:1// 0000000111BC: 7E1E02FA FF09080D
	v_and_b32_e32 v13, v13, v224                               // 0000000111C4: 261BC10D
	ds_write_b32 v254, v4 offset:8192                          // 0000000111C8: D81A2000 000004FE
	ds_write_b32 v254, v5 offset:9216                          // 0000000111D0: D81A2400 000005FE
	ds_write_b32 v254, v6 offset:10240                         // 0000000111D8: D81A2800 000006FE
	ds_write_b32 v254, v7 offset:11264                         // 0000000111E0: D81A2C00 000007FE
	ds_write_b32 v254, v8 offset:12288                         // 0000000111E8: D81A3000 000008FE
	ds_write_b32 v254, v9 offset:13312                         // 0000000111F0: D81A3400 000009FE
	ds_write_b32 v254, v10 offset:14336                        // 0000000111F8: D81A3800 00000AFE
	ds_write_b32 v254, v11 offset:15360                        // 000000011200: D81A3C00 00000BFE
	ds_write_b32 v254, v12 offset:16384                        // 000000011208: D81A4000 00000CFE
	ds_write_b32 v254, v13 offset:17408                        // 000000011210: D81A4400 00000DFE
	ds_write_b32 v254, v14 offset:18432                        // 000000011218: D81A4800 00000EFE
	ds_write_b32 v254, v15 offset:19456                        // 000000011220: D81A4C00 00000FFE
	v_rcp_f32_e32 v158, v188                                   // 000000011228: 7F3C45BC
	v_rcp_f32_e32 v160, v190                                   // 00000001122C: 7F4045BE
	v_rcp_f32_e32 v162, v192                                   // 000000011230: 7F4445C0
	v_mov_b32_e32 v159, v158                                   // 000000011234: 7F3E039E
	v_mov_b32_e32 v161, v160                                   // 000000011238: 7F4203A0
	v_mov_b32_e32 v163, v162                                   // 00000001123C: 7F4603A2
	v_pk_add_f32 v[124:125], v[124:125], v[100:101]            // 000000011240: D3B2407C 1802C97C
	v_pk_add_f32 v[126:127], v[126:127], v[102:103]            // 000000011248: D3B2407E 1802CD7E
	v_pk_add_f32 v[128:129], v[128:129], v[104:105]            // 000000011250: D3B24080 1802D180
	v_pk_add_f32 v[130:131], v[130:131], v[106:107]            // 000000011258: D3B24082 1802D582
	v_pk_add_f32 v[132:133], v[132:133], v[108:109]            // 000000011260: D3B24084 1802D984
	v_pk_add_f32 v[134:135], v[134:135], v[110:111]            // 000000011268: D3B24086 1802DD86
	v_pk_add_f32 v[136:137], v[136:137], v[112:113]            // 000000011270: D3B24088 1802E188
	v_pk_add_f32 v[138:139], v[138:139], v[114:115]            // 000000011278: D3B2408A 1802E58A
	v_pk_add_f32 v[140:141], v[140:141], v[116:117]            // 000000011280: D3B2408C 1802E98C
	v_pk_add_f32 v[142:143], v[142:143], v[118:119]            // 000000011288: D3B2408E 1802ED8E
	v_pk_add_f32 v[144:145], v[144:145], v[120:121]            // 000000011290: D3B24090 1802F190
	v_pk_add_f32 v[146:147], v[146:147], v[122:123]            // 000000011298: D3B24092 1802F592
	s_waitcnt lgkmcnt(0)                                       // 0000000112A0: BF8CC07F
	s_barrier                                                  // 0000000112A4: BF8A0000
	ds_read_b128 v[4:7], v255 offset:8192                      // 0000000112A8: D9FE2000 040000FF
	ds_read_b128 v[8:11], v255 offset:9216                     // 0000000112B0: D9FE2400 080000FF
	ds_read_b128 v[12:15], v255 offset:10240                   // 0000000112B8: D9FE2800 0C0000FF
	ds_read_b128 v[16:19], v255 offset:11264                   // 0000000112C0: D9FE2C00 100000FF
	ds_read_b128 v[20:23], v255 offset:12288                   // 0000000112C8: D9FE3000 140000FF
	ds_read_b128 v[24:27], v255 offset:13312                   // 0000000112D0: D9FE3400 180000FF
	ds_read_b128 v[28:31], v255 offset:14336                   // 0000000112D8: D9FE3800 1C0000FF
	ds_read_b128 v[32:35], v255 offset:15360                   // 0000000112E0: D9FE3C00 200000FF
	ds_read_b128 v[36:39], v255 offset:16384                   // 0000000112E8: D9FE4000 240000FF
	ds_read_b128 v[40:43], v255 offset:17408                   // 0000000112F0: D9FE4400 280000FF
	ds_read_b128 v[44:47], v255 offset:18432                   // 0000000112F8: D9FE4800 2C0000FF
	ds_read_b128 v[48:51], v255 offset:19456                   // 000000011300: D9FE4C00 300000FF
	s_waitcnt vmcnt(10)                                        // 000000011308: BF8C0F7A
	v_lshrrev_b32_e32 v1, 4, v0                                // 00000001130C: 20020084
	v_lshlrev_b32_e32 v1, 4, v1                                // 000000011310: 24020284
	v_add_u32_e32 v168, s64, v1                                // 000000011314: 69500240
	v_add_u32_e32 v168, 4, v168                                // 000000011318: 69515084
	v_sub_i32 v168, v168, s62                                  // 00000001131C: D29D00A8 00007DA8
	s_mov_b32 s54, 0                                           // 000000011324: BEB60080
	v_add_i32 v169, s54, v168                                  // 000000011328: D29C00A9 00035036
	v_cmp_lt_i32_e64 vcc, v169, 4                              // 000000011330: D0C1006A 000109A9
	v_min_u32_e32 v169, 4, v169                                // 000000011338: 1D535284
	v_lshlrev_b32_e32 v169, 3, v169                            // 00000001133C: 25535283
	v_lshrrev_b32_e64 v170, v169, -1                           // 000000011340: D11000AA 000183A9
	v_accvgpr_read_b32 v171, a88                               // 000000011348: D3D840AB 18000158
	v_cndmask_b32_e32 v171, 0, v171, vcc                       // 000000011350: 01575680
	v_and_b32_e32 v171, v171, v170                             // 000000011354: 275755AB
	v_accvgpr_write_b32 a88, v171                              // 000000011358: D3D94058 180001AB
	v_accvgpr_read_b32 v171, a104                              // 000000011360: D3D840AB 18000168
	v_cndmask_b32_e32 v171, 0, v171, vcc                       // 000000011368: 01575680
	v_and_b32_e32 v171, v171, v170                             // 00000001136C: 275755AB
	v_accvgpr_write_b32 a104, v171                             // 000000011370: D3D94068 180001AB
	s_mov_b32 s54, 4                                           // 000000011378: BEB60084
	v_add_i32 v169, s54, v168                                  // 00000001137C: D29C00A9 00035036
	v_cmp_lt_i32_e64 vcc, v169, 4                              // 000000011384: D0C1006A 000109A9
	v_min_u32_e32 v169, 4, v169                                // 00000001138C: 1D535284
	v_lshlrev_b32_e32 v169, 3, v169                            // 000000011390: 25535283
	v_lshrrev_b32_e64 v170, v169, -1                           // 000000011394: D11000AA 000183A9
	v_accvgpr_read_b32 v171, a89                               // 00000001139C: D3D840AB 18000159
	v_cndmask_b32_e32 v171, 0, v171, vcc                       // 0000000113A4: 01575680
	v_and_b32_e32 v171, v171, v170                             // 0000000113A8: 275755AB
	v_accvgpr_write_b32 a89, v171                              // 0000000113AC: D3D94059 180001AB
	v_accvgpr_read_b32 v171, a105                              // 0000000113B4: D3D840AB 18000169
	v_cndmask_b32_e32 v171, 0, v171, vcc                       // 0000000113BC: 01575680
	v_and_b32_e32 v171, v171, v170                             // 0000000113C0: 275755AB
	v_accvgpr_write_b32 a105, v171                             // 0000000113C4: D3D94069 180001AB
	s_mov_b32 s54, 8                                           // 0000000113CC: BEB60088
	v_add_i32 v169, s54, v168                                  // 0000000113D0: D29C00A9 00035036
	v_cmp_lt_i32_e64 vcc, v169, 4                              // 0000000113D8: D0C1006A 000109A9
	v_min_u32_e32 v169, 4, v169                                // 0000000113E0: 1D535284
	v_lshlrev_b32_e32 v169, 3, v169                            // 0000000113E4: 25535283
	v_lshrrev_b32_e64 v170, v169, -1                           // 0000000113E8: D11000AA 000183A9
	v_accvgpr_read_b32 v171, a90                               // 0000000113F0: D3D840AB 1800015A
	v_cndmask_b32_e32 v171, 0, v171, vcc                       // 0000000113F8: 01575680
	v_and_b32_e32 v171, v171, v170                             // 0000000113FC: 275755AB
	v_accvgpr_write_b32 a90, v171                              // 000000011400: D3D9405A 180001AB
	v_accvgpr_read_b32 v171, a106                              // 000000011408: D3D840AB 1800016A
	v_cndmask_b32_e32 v171, 0, v171, vcc                       // 000000011410: 01575680
	v_and_b32_e32 v171, v171, v170                             // 000000011414: 275755AB
	v_accvgpr_write_b32 a106, v171                             // 000000011418: D3D9406A 180001AB
	s_mov_b32 s54, 12                                          // 000000011420: BEB6008C
	v_add_i32 v169, s54, v168                                  // 000000011424: D29C00A9 00035036
	v_cmp_lt_i32_e64 vcc, v169, 4                              // 00000001142C: D0C1006A 000109A9
	v_min_u32_e32 v169, 4, v169                                // 000000011434: 1D535284
	v_lshlrev_b32_e32 v169, 3, v169                            // 000000011438: 25535283
	v_lshrrev_b32_e64 v170, v169, -1                           // 00000001143C: D11000AA 000183A9
	v_accvgpr_read_b32 v171, a91                               // 000000011444: D3D840AB 1800015B
	v_cndmask_b32_e32 v171, 0, v171, vcc                       // 00000001144C: 01575680
	v_and_b32_e32 v171, v171, v170                             // 000000011450: 275755AB
	v_accvgpr_write_b32 a91, v171                              // 000000011454: D3D9405B 180001AB
	v_accvgpr_read_b32 v171, a107                              // 00000001145C: D3D840AB 1800016B
	v_cndmask_b32_e32 v171, 0, v171, vcc                       // 000000011464: 01575680
	v_and_b32_e32 v171, v171, v170                             // 000000011468: 275755AB
	v_accvgpr_write_b32 a107, v171                             // 00000001146C: D3D9406B 180001AB
	s_mov_b32 s54, 64                                          // 000000011474: BEB600C0
	v_add_i32 v169, s54, v168                                  // 000000011478: D29C00A9 00035036
	v_cmp_lt_i32_e64 vcc, v169, 4                              // 000000011480: D0C1006A 000109A9
	v_min_u32_e32 v169, 4, v169                                // 000000011488: 1D535284
	v_lshlrev_b32_e32 v169, 3, v169                            // 00000001148C: 25535283
	v_lshrrev_b32_e64 v170, v169, -1                           // 000000011490: D11000AA 000183A9
	v_accvgpr_read_b32 v171, a92                               // 000000011498: D3D840AB 1800015C
	v_cndmask_b32_e32 v171, 0, v171, vcc                       // 0000000114A0: 01575680
	v_and_b32_e32 v171, v171, v170                             // 0000000114A4: 275755AB
	v_accvgpr_write_b32 a92, v171                              // 0000000114A8: D3D9405C 180001AB
	v_accvgpr_read_b32 v171, a108                              // 0000000114B0: D3D840AB 1800016C
	v_cndmask_b32_e32 v171, 0, v171, vcc                       // 0000000114B8: 01575680
	v_and_b32_e32 v171, v171, v170                             // 0000000114BC: 275755AB
	v_accvgpr_write_b32 a108, v171                             // 0000000114C0: D3D9406C 180001AB
	s_mov_b32 s54, 0x44                                        // 0000000114C8: BEB600FF 00000044
	v_add_i32 v169, s54, v168                                  // 0000000114D0: D29C00A9 00035036
	v_cmp_lt_i32_e64 vcc, v169, 4                              // 0000000114D8: D0C1006A 000109A9
	v_min_u32_e32 v169, 4, v169                                // 0000000114E0: 1D535284
	v_lshlrev_b32_e32 v169, 3, v169                            // 0000000114E4: 25535283
	v_lshrrev_b32_e64 v170, v169, -1                           // 0000000114E8: D11000AA 000183A9
	v_accvgpr_read_b32 v171, a93                               // 0000000114F0: D3D840AB 1800015D
	v_cndmask_b32_e32 v171, 0, v171, vcc                       // 0000000114F8: 01575680
	v_and_b32_e32 v171, v171, v170                             // 0000000114FC: 275755AB
	v_accvgpr_write_b32 a93, v171                              // 000000011500: D3D9405D 180001AB
	v_accvgpr_read_b32 v171, a109                              // 000000011508: D3D840AB 1800016D
	v_cndmask_b32_e32 v171, 0, v171, vcc                       // 000000011510: 01575680
	v_and_b32_e32 v171, v171, v170                             // 000000011514: 275755AB
	v_accvgpr_write_b32 a109, v171                             // 000000011518: D3D9406D 180001AB
	s_mov_b32 s54, 0x48                                        // 000000011520: BEB600FF 00000048
	v_add_i32 v169, s54, v168                                  // 000000011528: D29C00A9 00035036
	v_cmp_lt_i32_e64 vcc, v169, 4                              // 000000011530: D0C1006A 000109A9
	v_min_u32_e32 v169, 4, v169                                // 000000011538: 1D535284
	v_lshlrev_b32_e32 v169, 3, v169                            // 00000001153C: 25535283
	v_lshrrev_b32_e64 v170, v169, -1                           // 000000011540: D11000AA 000183A9
	v_accvgpr_read_b32 v171, a94                               // 000000011548: D3D840AB 1800015E
	v_cndmask_b32_e32 v171, 0, v171, vcc                       // 000000011550: 01575680
	v_and_b32_e32 v171, v171, v170                             // 000000011554: 275755AB
	v_accvgpr_write_b32 a94, v171                              // 000000011558: D3D9405E 180001AB
	v_accvgpr_read_b32 v171, a110                              // 000000011560: D3D840AB 1800016E
	v_cndmask_b32_e32 v171, 0, v171, vcc                       // 000000011568: 01575680
	v_and_b32_e32 v171, v171, v170                             // 00000001156C: 275755AB
	v_accvgpr_write_b32 a110, v171                             // 000000011570: D3D9406E 180001AB
	s_mov_b32 s54, 0x4c                                        // 000000011578: BEB600FF 0000004C
	v_add_i32 v169, s54, v168                                  // 000000011580: D29C00A9 00035036
	v_cmp_lt_i32_e64 vcc, v169, 4                              // 000000011588: D0C1006A 000109A9
	v_min_u32_e32 v169, 4, v169                                // 000000011590: 1D535284
	v_lshlrev_b32_e32 v169, 3, v169                            // 000000011594: 25535283
	v_lshrrev_b32_e64 v170, v169, -1                           // 000000011598: D11000AA 000183A9
	v_accvgpr_read_b32 v171, a95                               // 0000000115A0: D3D840AB 1800015F
	v_cndmask_b32_e32 v171, 0, v171, vcc                       // 0000000115A8: 01575680
	v_and_b32_e32 v171, v171, v170                             // 0000000115AC: 275755AB
	v_accvgpr_write_b32 a95, v171                              // 0000000115B0: D3D9405F 180001AB
	v_accvgpr_read_b32 v171, a111                              // 0000000115B8: D3D840AB 1800016F
	v_cndmask_b32_e32 v171, 0, v171, vcc                       // 0000000115C0: 01575680
	v_and_b32_e32 v171, v171, v170                             // 0000000115C4: 275755AB
	v_accvgpr_write_b32 a111, v171                             // 0000000115C8: D3D9406F 180001AB
	s_mov_b32 s54, 0x80                                        // 0000000115D0: BEB600FF 00000080
	v_add_i32 v169, s54, v168                                  // 0000000115D8: D29C00A9 00035036
	v_cmp_lt_i32_e64 vcc, v169, 4                              // 0000000115E0: D0C1006A 000109A9
	v_min_u32_e32 v169, 4, v169                                // 0000000115E8: 1D535284
	v_lshlrev_b32_e32 v169, 3, v169                            // 0000000115EC: 25535283
	v_lshrrev_b32_e64 v170, v169, -1                           // 0000000115F0: D11000AA 000183A9
	v_accvgpr_read_b32 v171, a96                               // 0000000115F8: D3D840AB 18000160
	v_cndmask_b32_e32 v171, 0, v171, vcc                       // 000000011600: 01575680
	v_and_b32_e32 v171, v171, v170                             // 000000011604: 275755AB
	v_accvgpr_write_b32 a96, v171                              // 000000011608: D3D94060 180001AB
	v_accvgpr_read_b32 v171, a112                              // 000000011610: D3D840AB 18000170
	v_cndmask_b32_e32 v171, 0, v171, vcc                       // 000000011618: 01575680
	v_and_b32_e32 v171, v171, v170                             // 00000001161C: 275755AB
	v_accvgpr_write_b32 a112, v171                             // 000000011620: D3D94070 180001AB
	s_mov_b32 s54, 0x84                                        // 000000011628: BEB600FF 00000084
	v_add_i32 v169, s54, v168                                  // 000000011630: D29C00A9 00035036
	v_cmp_lt_i32_e64 vcc, v169, 4                              // 000000011638: D0C1006A 000109A9
	v_min_u32_e32 v169, 4, v169                                // 000000011640: 1D535284
	v_lshlrev_b32_e32 v169, 3, v169                            // 000000011644: 25535283
	v_lshrrev_b32_e64 v170, v169, -1                           // 000000011648: D11000AA 000183A9
	v_accvgpr_read_b32 v171, a97                               // 000000011650: D3D840AB 18000161
	v_cndmask_b32_e32 v171, 0, v171, vcc                       // 000000011658: 01575680
	v_and_b32_e32 v171, v171, v170                             // 00000001165C: 275755AB
	v_accvgpr_write_b32 a97, v171                              // 000000011660: D3D94061 180001AB
	v_accvgpr_read_b32 v171, a113                              // 000000011668: D3D840AB 18000171
	v_cndmask_b32_e32 v171, 0, v171, vcc                       // 000000011670: 01575680
	v_and_b32_e32 v171, v171, v170                             // 000000011674: 275755AB
	v_accvgpr_write_b32 a113, v171                             // 000000011678: D3D94071 180001AB
	s_mov_b32 s54, 0x88                                        // 000000011680: BEB600FF 00000088
	v_add_i32 v169, s54, v168                                  // 000000011688: D29C00A9 00035036
	v_cmp_lt_i32_e64 vcc, v169, 4                              // 000000011690: D0C1006A 000109A9
	v_min_u32_e32 v169, 4, v169                                // 000000011698: 1D535284
	v_lshlrev_b32_e32 v169, 3, v169                            // 00000001169C: 25535283
	v_lshrrev_b32_e64 v170, v169, -1                           // 0000000116A0: D11000AA 000183A9
	v_accvgpr_read_b32 v171, a98                               // 0000000116A8: D3D840AB 18000162
	v_cndmask_b32_e32 v171, 0, v171, vcc                       // 0000000116B0: 01575680
	v_and_b32_e32 v171, v171, v170                             // 0000000116B4: 275755AB
	v_accvgpr_write_b32 a98, v171                              // 0000000116B8: D3D94062 180001AB
	v_accvgpr_read_b32 v171, a114                              // 0000000116C0: D3D840AB 18000172
	v_cndmask_b32_e32 v171, 0, v171, vcc                       // 0000000116C8: 01575680
	v_and_b32_e32 v171, v171, v170                             // 0000000116CC: 275755AB
	v_accvgpr_write_b32 a114, v171                             // 0000000116D0: D3D94072 180001AB
	s_mov_b32 s54, 0x8c                                        // 0000000116D8: BEB600FF 0000008C
	v_add_i32 v169, s54, v168                                  // 0000000116E0: D29C00A9 00035036
	v_cmp_lt_i32_e64 vcc, v169, 4                              // 0000000116E8: D0C1006A 000109A9
	v_min_u32_e32 v169, 4, v169                                // 0000000116F0: 1D535284
	v_lshlrev_b32_e32 v169, 3, v169                            // 0000000116F4: 25535283
	v_lshrrev_b32_e64 v170, v169, -1                           // 0000000116F8: D11000AA 000183A9
	v_accvgpr_read_b32 v171, a99                               // 000000011700: D3D840AB 18000163
	v_cndmask_b32_e32 v171, 0, v171, vcc                       // 000000011708: 01575680
	v_and_b32_e32 v171, v171, v170                             // 00000001170C: 275755AB
	v_accvgpr_write_b32 a99, v171                              // 000000011710: D3D94063 180001AB
	v_accvgpr_read_b32 v171, a115                              // 000000011718: D3D840AB 18000173
	v_cndmask_b32_e32 v171, 0, v171, vcc                       // 000000011720: 01575680
	v_and_b32_e32 v171, v171, v170                             // 000000011724: 275755AB
	v_accvgpr_write_b32 a115, v171                             // 000000011728: D3D94073 180001AB
	s_mov_b32 s54, 0xc0                                        // 000000011730: BEB600FF 000000C0
	v_add_i32 v169, s54, v168                                  // 000000011738: D29C00A9 00035036
	v_cmp_lt_i32_e64 vcc, v169, 4                              // 000000011740: D0C1006A 000109A9
	v_min_u32_e32 v169, 4, v169                                // 000000011748: 1D535284
	v_lshlrev_b32_e32 v169, 3, v169                            // 00000001174C: 25535283
	v_lshrrev_b32_e64 v170, v169, -1                           // 000000011750: D11000AA 000183A9
	v_accvgpr_read_b32 v171, a100                              // 000000011758: D3D840AB 18000164
	v_cndmask_b32_e32 v171, 0, v171, vcc                       // 000000011760: 01575680
	v_and_b32_e32 v171, v171, v170                             // 000000011764: 275755AB
	v_accvgpr_write_b32 a100, v171                             // 000000011768: D3D94064 180001AB
	v_accvgpr_read_b32 v171, a116                              // 000000011770: D3D840AB 18000174
	v_cndmask_b32_e32 v171, 0, v171, vcc                       // 000000011778: 01575680
	v_and_b32_e32 v171, v171, v170                             // 00000001177C: 275755AB
	v_accvgpr_write_b32 a116, v171                             // 000000011780: D3D94074 180001AB
	s_mov_b32 s54, 0xc4                                        // 000000011788: BEB600FF 000000C4
	v_add_i32 v169, s54, v168                                  // 000000011790: D29C00A9 00035036
	v_cmp_lt_i32_e64 vcc, v169, 4                              // 000000011798: D0C1006A 000109A9
	v_min_u32_e32 v169, 4, v169                                // 0000000117A0: 1D535284
	v_lshlrev_b32_e32 v169, 3, v169                            // 0000000117A4: 25535283
	v_lshrrev_b32_e64 v170, v169, -1                           // 0000000117A8: D11000AA 000183A9
	v_accvgpr_read_b32 v171, a101                              // 0000000117B0: D3D840AB 18000165
	v_cndmask_b32_e32 v171, 0, v171, vcc                       // 0000000117B8: 01575680
	v_and_b32_e32 v171, v171, v170                             // 0000000117BC: 275755AB
	v_accvgpr_write_b32 a101, v171                             // 0000000117C0: D3D94065 180001AB
	v_accvgpr_read_b32 v171, a117                              // 0000000117C8: D3D840AB 18000175
	v_cndmask_b32_e32 v171, 0, v171, vcc                       // 0000000117D0: 01575680
	v_and_b32_e32 v171, v171, v170                             // 0000000117D4: 275755AB
	v_accvgpr_write_b32 a117, v171                             // 0000000117D8: D3D94075 180001AB
	s_mov_b32 s54, 0xc8                                        // 0000000117E0: BEB600FF 000000C8
	v_add_i32 v169, s54, v168                                  // 0000000117E8: D29C00A9 00035036
	v_cmp_lt_i32_e64 vcc, v169, 4                              // 0000000117F0: D0C1006A 000109A9
	v_min_u32_e32 v169, 4, v169                                // 0000000117F8: 1D535284
	v_lshlrev_b32_e32 v169, 3, v169                            // 0000000117FC: 25535283
	v_lshrrev_b32_e64 v170, v169, -1                           // 000000011800: D11000AA 000183A9
	v_accvgpr_read_b32 v171, a102                              // 000000011808: D3D840AB 18000166
	v_cndmask_b32_e32 v171, 0, v171, vcc                       // 000000011810: 01575680
	v_and_b32_e32 v171, v171, v170                             // 000000011814: 275755AB
	v_accvgpr_write_b32 a102, v171                             // 000000011818: D3D94066 180001AB
	v_accvgpr_read_b32 v171, a118                              // 000000011820: D3D840AB 18000176
	v_cndmask_b32_e32 v171, 0, v171, vcc                       // 000000011828: 01575680
	v_and_b32_e32 v171, v171, v170                             // 00000001182C: 275755AB
	v_accvgpr_write_b32 a118, v171                             // 000000011830: D3D94076 180001AB
	s_mov_b32 s54, 0xcc                                        // 000000011838: BEB600FF 000000CC
	v_add_i32 v169, s54, v168                                  // 000000011840: D29C00A9 00035036
	v_cmp_lt_i32_e64 vcc, v169, 4                              // 000000011848: D0C1006A 000109A9
	v_min_u32_e32 v169, 4, v169                                // 000000011850: 1D535284
	v_lshlrev_b32_e32 v169, 3, v169                            // 000000011854: 25535283
	v_lshrrev_b32_e64 v170, v169, -1                           // 000000011858: D11000AA 000183A9
	v_accvgpr_read_b32 v171, a103                              // 000000011860: D3D840AB 18000167
	v_cndmask_b32_e32 v171, 0, v171, vcc                       // 000000011868: 01575680
	v_and_b32_e32 v171, v171, v170                             // 00000001186C: 275755AB
	v_accvgpr_write_b32 a103, v171                             // 000000011870: D3D94067 180001AB
	v_accvgpr_read_b32 v171, a119                              // 000000011878: D3D840AB 18000177
	v_cndmask_b32_e32 v171, 0, v171, vcc                       // 000000011880: 01575680
	v_and_b32_e32 v171, v171, v170                             // 000000011884: 275755AB
	v_accvgpr_write_b32 a119, v171                             // 000000011888: D3D94077 180001AB
	s_waitcnt lgkmcnt(11)                                      // 000000011890: BF8CCB7F
	v_mfma_f32_16x16x32_fp8_fp8 v[100:103], a[88:89], v[4:5], 0// 000000011894: D3F30064 0A020958
	v_mfma_f32_16x16x32_fp8_fp8 v[104:107], a[104:105], v[4:5], 0// 00000001189C: D3F30068 0A020968
	v_mfma_f32_16x16x32_fp8_fp8 v[100:103], a[90:91], v[6:7], v[100:103]// 0000000118A4: D3F30064 0D920D5A
	buffer_load_dwordx4 a[120:123], v234, s[16:19], 0 offen    // 0000000118AC: E05C1000 808478EA
	v_mfma_f32_16x16x32_fp8_fp8 v[104:107], a[106:107], v[6:7], v[104:107]// 0000000118B4: D3F30068 0DA20D6A
	s_waitcnt lgkmcnt(10)                                      // 0000000118BC: BF8CCA7F
	v_mfma_f32_16x16x32_fp8_fp8 v[100:103], a[92:93], v[8:9], v[100:103]// 0000000118C0: D3F30064 0D92115C
	v_mfma_f32_16x16x32_fp8_fp8 v[104:107], a[108:109], v[8:9], v[104:107]// 0000000118C8: D3F30068 0DA2116C
	v_mfma_f32_16x16x32_fp8_fp8 v[100:103], a[94:95], v[10:11], v[100:103]// 0000000118D0: D3F30064 0D92155E
	buffer_load_dwordx4 a[124:127], v235, s[16:19], 0 offen    // 0000000118D8: E05C1000 80847CEB
	v_mfma_f32_16x16x32_fp8_fp8 v[104:107], a[110:111], v[10:11], v[104:107]// 0000000118E0: D3F30068 0DA2156E
	s_waitcnt lgkmcnt(9)                                       // 0000000118E8: BF8CC97F
	v_mfma_f32_16x16x32_fp8_fp8 v[100:103], a[96:97], v[12:13], v[100:103]// 0000000118EC: D3F30064 0D921960
	v_mfma_f32_16x16x32_fp8_fp8 v[104:107], a[112:113], v[12:13], v[104:107]// 0000000118F4: D3F30068 0DA21970
	v_mfma_f32_16x16x32_fp8_fp8 v[100:103], a[98:99], v[14:15], v[100:103]// 0000000118FC: D3F30064 0D921D62
	buffer_load_dwordx4 a[128:131], v236, s[16:19], 0 offen    // 000000011904: E05C1000 808480EC
	v_mfma_f32_16x16x32_fp8_fp8 v[104:107], a[114:115], v[14:15], v[104:107]// 00000001190C: D3F30068 0DA21D72
	s_waitcnt lgkmcnt(8)                                       // 000000011914: BF8CC87F
	v_mfma_f32_16x16x32_fp8_fp8 v[100:103], a[100:101], v[16:17], v[100:103]// 000000011918: D3F30064 0D922164
	v_mfma_f32_16x16x32_fp8_fp8 v[104:107], a[116:117], v[16:17], v[104:107]// 000000011920: D3F30068 0DA22174
	v_mfma_f32_16x16x32_fp8_fp8 v[100:103], a[102:103], v[18:19], v[100:103]// 000000011928: D3F30064 0D922566
	buffer_load_dwordx4 a[132:135], v237, s[16:19], 0 offen    // 000000011930: E05C1000 808484ED
	v_mfma_f32_16x16x32_fp8_fp8 v[104:107], a[118:119], v[18:19], v[104:107]// 000000011938: D3F30068 0DA22576
	s_waitcnt lgkmcnt(7)                                       // 000000011940: BF8CC77F
	v_mfma_f32_16x16x32_fp8_fp8 v[108:111], a[88:89], v[20:21], 0// 000000011944: D3F3006C 0A022958
	v_mfma_f32_16x16x32_fp8_fp8 v[112:115], a[104:105], v[20:21], 0// 00000001194C: D3F30070 0A022968
	v_mfma_f32_16x16x32_fp8_fp8 v[108:111], a[90:91], v[22:23], v[108:111]// 000000011954: D3F3006C 0DB22D5A
	buffer_load_dwordx4 a[136:139], v234, s[16:19], 0 offen offset:1024// 00000001195C: E05C1400 808488EA
	v_mfma_f32_16x16x32_fp8_fp8 v[112:115], a[106:107], v[22:23], v[112:115]// 000000011964: D3F30070 0DC22D6A
	s_waitcnt lgkmcnt(6)                                       // 00000001196C: BF8CC67F
	v_mfma_f32_16x16x32_fp8_fp8 v[108:111], a[92:93], v[24:25], v[108:111]// 000000011970: D3F3006C 0DB2315C
	v_mfma_f32_16x16x32_fp8_fp8 v[112:115], a[108:109], v[24:25], v[112:115]// 000000011978: D3F30070 0DC2316C
	v_mfma_f32_16x16x32_fp8_fp8 v[108:111], a[94:95], v[26:27], v[108:111]// 000000011980: D3F3006C 0DB2355E
	buffer_load_dwordx4 a[140:143], v235, s[16:19], 0 offen offset:1024// 000000011988: E05C1400 80848CEB
	v_mfma_f32_16x16x32_fp8_fp8 v[112:115], a[110:111], v[26:27], v[112:115]// 000000011990: D3F30070 0DC2356E
	s_waitcnt lgkmcnt(5)                                       // 000000011998: BF8CC57F
	v_mfma_f32_16x16x32_fp8_fp8 v[108:111], a[96:97], v[28:29], v[108:111]// 00000001199C: D3F3006C 0DB23960
	v_mfma_f32_16x16x32_fp8_fp8 v[112:115], a[112:113], v[28:29], v[112:115]// 0000000119A4: D3F30070 0DC23970
	v_mfma_f32_16x16x32_fp8_fp8 v[108:111], a[98:99], v[30:31], v[108:111]// 0000000119AC: D3F3006C 0DB23D62
	buffer_load_dwordx4 a[144:147], v236, s[16:19], 0 offen offset:1024// 0000000119B4: E05C1400 808490EC
	v_mfma_f32_16x16x32_fp8_fp8 v[112:115], a[114:115], v[30:31], v[112:115]// 0000000119BC: D3F30070 0DC23D72
	s_waitcnt lgkmcnt(4)                                       // 0000000119C4: BF8CC47F
	v_mfma_f32_16x16x32_fp8_fp8 v[108:111], a[100:101], v[32:33], v[108:111]// 0000000119C8: D3F3006C 0DB24164
	v_mfma_f32_16x16x32_fp8_fp8 v[112:115], a[116:117], v[32:33], v[112:115]// 0000000119D0: D3F30070 0DC24174
	v_mfma_f32_16x16x32_fp8_fp8 v[108:111], a[102:103], v[34:35], v[108:111]// 0000000119D8: D3F3006C 0DB24566
	buffer_load_dwordx4 a[148:151], v237, s[16:19], 0 offen offset:1024// 0000000119E0: E05C1400 808494ED
	v_mfma_f32_16x16x32_fp8_fp8 v[112:115], a[118:119], v[34:35], v[112:115]// 0000000119E8: D3F30070 0DC24576
	s_waitcnt lgkmcnt(3)                                       // 0000000119F0: BF8CC37F
	v_mfma_f32_16x16x32_fp8_fp8 v[116:119], a[88:89], v[36:37], 0// 0000000119F4: D3F30074 0A024958
	v_mfma_f32_16x16x32_fp8_fp8 v[120:123], a[104:105], v[36:37], 0// 0000000119FC: D3F30078 0A024968
	v_mfma_f32_16x16x32_fp8_fp8 v[116:119], a[90:91], v[38:39], v[116:119]// 000000011A04: D3F30074 0DD24D5A
	v_mfma_f32_16x16x32_fp8_fp8 v[120:123], a[106:107], v[38:39], v[120:123]// 000000011A0C: D3F30078 0DE24D6A
	s_waitcnt lgkmcnt(2)                                       // 000000011A14: BF8CC27F
	v_mfma_f32_16x16x32_fp8_fp8 v[116:119], a[92:93], v[40:41], v[116:119]// 000000011A18: D3F30074 0DD2515C
	v_mfma_f32_16x16x32_fp8_fp8 v[120:123], a[108:109], v[40:41], v[120:123]// 000000011A20: D3F30078 0DE2516C
	v_mfma_f32_16x16x32_fp8_fp8 v[116:119], a[94:95], v[42:43], v[116:119]// 000000011A28: D3F30074 0DD2555E
	v_mfma_f32_16x16x32_fp8_fp8 v[120:123], a[110:111], v[42:43], v[120:123]// 000000011A30: D3F30078 0DE2556E
	s_waitcnt lgkmcnt(1)                                       // 000000011A38: BF8CC17F
	v_mfma_f32_16x16x32_fp8_fp8 v[116:119], a[96:97], v[44:45], v[116:119]// 000000011A3C: D3F30074 0DD25960
	v_mfma_f32_16x16x32_fp8_fp8 v[120:123], a[112:113], v[44:45], v[120:123]// 000000011A44: D3F30078 0DE25970
	v_mfma_f32_16x16x32_fp8_fp8 v[116:119], a[98:99], v[46:47], v[116:119]// 000000011A4C: D3F30074 0DD25D62
	v_mfma_f32_16x16x32_fp8_fp8 v[120:123], a[114:115], v[46:47], v[120:123]// 000000011A54: D3F30078 0DE25D72
	s_waitcnt lgkmcnt(0)                                       // 000000011A5C: BF8CC07F
	v_mfma_f32_16x16x32_fp8_fp8 v[116:119], a[100:101], v[48:49], v[116:119]// 000000011A60: D3F30074 0DD26164
	v_mfma_f32_16x16x32_fp8_fp8 v[120:123], a[116:117], v[48:49], v[120:123]// 000000011A68: D3F30078 0DE26174
	v_mfma_f32_16x16x32_fp8_fp8 v[116:119], a[102:103], v[50:51], v[116:119]// 000000011A70: D3F30074 0DD26566
	v_mfma_f32_16x16x32_fp8_fp8 v[120:123], a[118:119], v[50:51], v[120:123]// 000000011A78: D3F30078 0DE26576
	s_addk_i32 s64, 0x100                                      // 000000011A80: B7400100

0000000000011a84 <label_3CA1>:
	s_cmp_lt_i32 s64, s62                                      // 000000011A84: BF043E40
	s_cbranch_scc0 label_440C                                  // 000000011A88: BF840769
	s_waitcnt vmcnt(10)                                        // 000000011A8C: BF8C0F7A
	v_mfma_f32_16x16x32_fp8_fp8 v[4:7], a[56:57], a[0:1], 0    // 000000011A90: D3F30004 1A020138
	s_add_u32 s12, s86, s69                                    // 000000011A98: 800C4556
	s_addc_u32 s13, s87, 0                                     // 000000011A9C: 820D8057
	v_mfma_f32_16x16x32_fp8_fp8 v[4:7], a[58:59], a[2:3], v[4:7]// 000000011AA0: D3F30004 1C12053A
	s_add_u32 s16, s88, s70                                    // 000000011AA8: 80104658
	s_addc_u32 s17, s89, 0                                     // 000000011AAC: 82118059
	v_mfma_f32_16x16x32_fp8_fp8 v[4:7], a[60:61], a[4:5], v[4:7]// 000000011AB0: D3F30004 1C12093C
	buffer_load_dwordx4 a[24:27], v232, s[12:15], 0 offen      // 000000011AB8: E05C1000 808318E8
	v_mfma_f32_16x16x32_fp8_fp8 v[4:7], a[62:63], a[6:7], v[4:7]// 000000011AC0: D3F30004 1C120D3E
	s_add_u32 s20, s90, s71                                    // 000000011AC8: 8014475A
	s_addc_u32 s21, s91, 0                                     // 000000011ACC: 8215805B
	v_mfma_f32_16x16x32_fp8_fp8 v[8:11], a[64:65], a[0:1], 0   // 000000011AD0: D3F30008 1A020140
	s_add_u32 s24, s92, s71                                    // 000000011AD8: 8018475C
	s_addc_u32 s25, s93, 0                                     // 000000011ADC: 8219805D
	v_mfma_f32_16x16x32_fp8_fp8 v[8:11], a[66:67], a[2:3], v[8:11]// 000000011AE0: D3F30008 1C220542
	s_add_u32 s69, s69, 0x1000                                 // 000000011AE8: 8045FF45 00001000
	s_add_u32 s70, s70, 0x8000                                 // 000000011AF0: 8046FF46 00008000
	v_mfma_f32_16x16x32_fp8_fp8 v[8:11], a[68:69], a[4:5], v[8:11]// 000000011AF8: D3F30008 1C220944
	buffer_load_dwordx4 a[28:31], v233, s[12:15], 0 offen      // 000000011B00: E05C1000 80831CE9
	v_mfma_f32_16x16x32_fp8_fp8 v[8:11], a[70:71], a[6:7], v[8:11]// 000000011B08: D3F30008 1C220D46
	s_add_u32 s71, s71, 0x400                                  // 000000011B10: 8047FF47 00000400
	v_mfma_f32_16x16x32_fp8_fp8 v[12:15], a[72:73], a[0:1], 0  // 000000011B18: D3F3000C 1A020148
	v_mfma_f32_16x16x32_fp8_fp8 v[12:15], a[74:75], a[2:3], v[12:15]// 000000011B20: D3F3000C 1C32054A
	v_mfma_f32_16x16x32_fp8_fp8 v[12:15], a[76:77], a[4:5], v[12:15]// 000000011B28: D3F3000C 1C32094C
	buffer_load_dwordx4 a[32:35], v232, s[12:15], 0 offen offset:1024// 000000011B30: E05C1400 808320E8
	v_mfma_f32_16x16x32_fp8_fp8 v[12:15], a[78:79], a[6:7], v[12:15]// 000000011B38: D3F3000C 1C320D4E
	v_mfma_f32_16x16x32_fp8_fp8 v[16:19], a[80:81], a[0:1], 0  // 000000011B40: D3F30010 1A020150
	v_mfma_f32_16x16x32_fp8_fp8 v[16:19], a[82:83], a[2:3], v[16:19]// 000000011B48: D3F30010 1C420552
	v_mfma_f32_16x16x32_fp8_fp8 v[16:19], a[84:85], a[4:5], v[16:19]// 000000011B50: D3F30010 1C420954
	buffer_load_dwordx4 a[36:39], v233, s[12:15], 0 offen offset:1024// 000000011B58: E05C1400 808324E9
	v_mfma_f32_16x16x32_fp8_fp8 v[16:19], a[86:87], a[6:7], v[16:19]// 000000011B60: D3F30010 1C420D56
	v_mfma_f32_16x16x32_fp8_fp8 v[20:23], a[56:57], a[8:9], 0  // 000000011B68: D3F30014 1A021138
	v_mfma_f32_16x16x32_fp8_fp8 v[20:23], a[58:59], a[10:11], v[20:23]// 000000011B70: D3F30014 1C52153A
	v_mfma_f32_16x16x32_fp8_fp8 v[20:23], a[60:61], a[12:13], v[20:23]// 000000011B78: D3F30014 1C52193C
	buffer_load_dwordx4 a[40:43], v232, s[12:15], 0 offen offset:2048// 000000011B80: E05C1800 808328E8
	v_mfma_f32_16x16x32_fp8_fp8 v[20:23], a[62:63], a[14:15], v[20:23]// 000000011B88: D3F30014 1C521D3E
	v_mfma_f32_16x16x32_fp8_fp8 v[24:27], a[64:65], a[8:9], 0  // 000000011B90: D3F30018 1A021140
	v_mfma_f32_16x16x32_fp8_fp8 v[24:27], a[66:67], a[10:11], v[24:27]// 000000011B98: D3F30018 1C621542
	v_mfma_f32_16x16x32_fp8_fp8 v[24:27], a[68:69], a[12:13], v[24:27]// 000000011BA0: D3F30018 1C621944
	buffer_load_dwordx4 a[44:47], v233, s[12:15], 0 offen offset:2048// 000000011BA8: E05C1800 80832CE9
	v_mfma_f32_16x16x32_fp8_fp8 v[24:27], a[70:71], a[14:15], v[24:27]// 000000011BB0: D3F30018 1C621D46
	v_mfma_f32_16x16x32_fp8_fp8 v[28:31], a[72:73], a[8:9], 0  // 000000011BB8: D3F3001C 1A021148
	v_mfma_f32_16x16x32_fp8_fp8 v[28:31], a[74:75], a[10:11], v[28:31]// 000000011BC0: D3F3001C 1C72154A
	v_mfma_f32_16x16x32_fp8_fp8 v[28:31], a[76:77], a[12:13], v[28:31]// 000000011BC8: D3F3001C 1C72194C
	buffer_load_dwordx4 a[48:51], v232, s[12:15], 0 offen offset:3072// 000000011BD0: E05C1C00 808330E8
	v_mfma_f32_16x16x32_fp8_fp8 v[28:31], a[78:79], a[14:15], v[28:31]// 000000011BD8: D3F3001C 1C721D4E
	v_mfma_f32_16x16x32_fp8_fp8 v[32:35], a[80:81], a[8:9], 0  // 000000011BE0: D3F30020 1A021150
	v_mfma_f32_16x16x32_fp8_fp8 v[32:35], a[82:83], a[10:11], v[32:35]// 000000011BE8: D3F30020 1C821552
	v_mfma_f32_16x16x32_fp8_fp8 v[32:35], a[84:85], a[12:13], v[32:35]// 000000011BF0: D3F30020 1C821954
	buffer_load_dwordx4 a[52:55], v233, s[12:15], 0 offen offset:3072// 000000011BF8: E05C1C00 808334E9
	v_mfma_f32_16x16x32_fp8_fp8 v[32:35], a[86:87], a[14:15], v[32:35]// 000000011C00: D3F30020 1C821D56
	v_mfma_f32_16x16x32_fp8_fp8 v[36:39], a[56:57], a[16:17], 0// 000000011C08: D3F30024 1A022138
	v_mfma_f32_16x16x32_fp8_fp8 v[36:39], a[58:59], a[18:19], v[36:39]// 000000011C10: D3F30024 1C92253A
	v_mfma_f32_16x16x32_fp8_fp8 v[36:39], a[60:61], a[20:21], v[36:39]// 000000011C18: D3F30024 1C92293C
	v_mfma_f32_16x16x32_fp8_fp8 v[36:39], a[62:63], a[22:23], v[36:39]// 000000011C20: D3F30024 1C922D3E
	v_mfma_f32_16x16x32_fp8_fp8 v[40:43], a[64:65], a[16:17], 0// 000000011C28: D3F30028 1A022140
	v_mfma_f32_16x16x32_fp8_fp8 v[40:43], a[66:67], a[18:19], v[40:43]// 000000011C30: D3F30028 1CA22542
	v_mfma_f32_16x16x32_fp8_fp8 v[40:43], a[68:69], a[20:21], v[40:43]// 000000011C38: D3F30028 1CA22944
	v_mfma_f32_16x16x32_fp8_fp8 v[40:43], a[70:71], a[22:23], v[40:43]// 000000011C40: D3F30028 1CA22D46
	v_mfma_f32_16x16x32_fp8_fp8 v[44:47], a[72:73], a[16:17], 0// 000000011C48: D3F3002C 1A022148
	v_mfma_f32_16x16x32_fp8_fp8 v[44:47], a[74:75], a[18:19], v[44:47]// 000000011C50: D3F3002C 1CB2254A
	v_mfma_f32_16x16x32_fp8_fp8 v[44:47], a[76:77], a[20:21], v[44:47]// 000000011C58: D3F3002C 1CB2294C
	v_mfma_f32_16x16x32_fp8_fp8 v[44:47], a[78:79], a[22:23], v[44:47]// 000000011C60: D3F3002C 1CB22D4E
	v_mfma_f32_16x16x32_fp8_fp8 v[48:51], a[80:81], a[16:17], 0// 000000011C68: D3F30030 1A022150
	v_mfma_f32_16x16x32_fp8_fp8 v[48:51], a[82:83], a[18:19], v[48:51]// 000000011C70: D3F30030 1CC22552
	v_mfma_f32_16x16x32_fp8_fp8 v[48:51], a[84:85], a[20:21], v[48:51]// 000000011C78: D3F30030 1CC22954
	v_mfma_f32_16x16x32_fp8_fp8 v[48:51], a[86:87], a[22:23], v[48:51]// 000000011C80: D3F30030 1CC22D56
	s_waitcnt vmcnt(16)                                        // 000000011C88: BF8C4F70
	v_or_b32_dpp v36, v44, v36 row_shr:8 row_mask:0xf bank_mask:0xf bound_ctrl:1// 000000011C8C: 284848FA FF09182C
	v_or_b32_dpp v37, v45, v37 row_shr:8 row_mask:0xf bank_mask:0xf bound_ctrl:1// 000000011C94: 284A4AFA FF09182D
	v_or_b32_dpp v38, v46, v38 row_shr:8 row_mask:0xf bank_mask:0xf bound_ctrl:1// 000000011C9C: 284C4CFA FF09182E
	v_or_b32_dpp v39, v47, v39 row_shr:8 row_mask:0xf bank_mask:0xf bound_ctrl:1// 000000011CA4: 284E4EFA FF09182F
	v_or_b32_dpp v40, v48, v40 row_shr:8 row_mask:0xf bank_mask:0xf bound_ctrl:1// 000000011CAC: 285050FA FF091830
	v_or_b32_dpp v41, v49, v41 row_shr:8 row_mask:0xf bank_mask:0xf bound_ctrl:1// 000000011CB4: 285252FA FF091831
	v_or_b32_dpp v42, v50, v42 row_shr:8 row_mask:0xf bank_mask:0xf bound_ctrl:1// 000000011CBC: 285454FA FF091832
	v_or_b32_dpp v43, v51, v43 row_shr:8 row_mask:0xf bank_mask:0xf bound_ctrl:1// 000000011CC4: 285656FA FF091833
	v_mov_b32_dpp v168, v155 row_shr:4 row_mask:0xf bank_mask:0xf// 000000011CCC: 7F5002FA FF01149B
	v_mov_b32_dpp v169, v155 row_shl:4 row_mask:0xf bank_mask:0xf// 000000011CD4: 7F5202FA FF01049B
	v_cndmask_b32_e64 v164, v155, v168, s[2:3]                 // 000000011CDC: D10000A4 000B519B
	v_cndmask_b32_e64 v165, v169, v155, s[2:3]                 // 000000011CE4: D10000A5 000B37A9
	v_mov_b32_dpp v168, v157 row_shr:4 row_mask:0xf bank_mask:0xf// 000000011CEC: 7F5002FA FF01149D
	v_mov_b32_dpp v169, v157 row_shl:4 row_mask:0xf bank_mask:0xf// 000000011CF4: 7F5202FA FF01049D
	v_cndmask_b32_e64 v166, v157, v168, s[2:3]                 // 000000011CFC: D10000A6 000B519D
	v_cndmask_b32_e64 v167, v169, v157, s[2:3]                 // 000000011D04: D10000A7 000B3BA9
	v_pk_mul_f32 v[4:5], v[148:149], v[4:5]                    // 000000011D0C: D3B14004 18020994
	v_pk_mul_f32 v[6:7], v[148:149], v[6:7]                    // 000000011D14: D3B14006 18020D94
	v_pk_mul_f32 v[8:9], v[148:149], v[8:9]                    // 000000011D1C: D3B14008 18021194
	v_pk_mul_f32 v[10:11], v[148:149], v[10:11]                // 000000011D24: D3B1400A 18021594
	v_pk_mul_f32 v[12:13], v[148:149], v[12:13]                // 000000011D2C: D3B1400C 18021994
	v_pk_mul_f32 v[14:15], v[148:149], v[14:15]                // 000000011D34: D3B1400E 18021D94
	v_pk_mul_f32 v[16:17], v[148:149], v[16:17]                // 000000011D3C: D3B14010 18022194
	v_pk_mul_f32 v[18:19], v[148:149], v[18:19]                // 000000011D44: D3B14012 18022594
	v_mul_f32_dpp v4, v155, v4 row_newbcast:0 row_mask:0xf bank_mask:0xf// 000000011D4C: 0A0808FA FF01509B
	v_mul_f32_dpp v5, v155, v5 row_newbcast:1 row_mask:0xf bank_mask:0xf// 000000011D54: 0A0A0AFA FF01519B
	v_mul_f32_dpp v6, v155, v6 row_newbcast:2 row_mask:0xf bank_mask:0xf// 000000011D5C: 0A0C0CFA FF01529B
	v_mul_f32_dpp v7, v155, v7 row_newbcast:3 row_mask:0xf bank_mask:0xf// 000000011D64: 0A0E0EFA FF01539B
	v_mul_f32_dpp v8, v155, v8 row_newbcast:4 row_mask:0xf bank_mask:0xf// 000000011D6C: 0A1010FA FF01549B
	v_mul_f32_dpp v9, v155, v9 row_newbcast:5 row_mask:0xf bank_mask:0xf// 000000011D74: 0A1212FA FF01559B
	v_mul_f32_dpp v10, v155, v10 row_newbcast:6 row_mask:0xf bank_mask:0xf// 000000011D7C: 0A1414FA FF01569B
	v_mul_f32_dpp v11, v155, v11 row_newbcast:7 row_mask:0xf bank_mask:0xf// 000000011D84: 0A1616FA FF01579B
	v_mul_f32_dpp v12, v155, v12 row_newbcast:8 row_mask:0xf bank_mask:0xf// 000000011D8C: 0A1818FA FF01589B
	v_mul_f32_dpp v13, v155, v13 row_newbcast:9 row_mask:0xf bank_mask:0xf// 000000011D94: 0A1A1AFA FF01599B
	v_mul_f32_dpp v14, v155, v14 row_newbcast:10 row_mask:0xf bank_mask:0xf// 000000011D9C: 0A1C1CFA FF015A9B
	v_mul_f32_dpp v15, v155, v15 row_newbcast:11 row_mask:0xf bank_mask:0xf// 000000011DA4: 0A1E1EFA FF015B9B
	v_mul_f32_dpp v16, v155, v16 row_newbcast:12 row_mask:0xf bank_mask:0xf// 000000011DAC: 0A2020FA FF015C9B
	v_mul_f32_dpp v17, v155, v17 row_newbcast:13 row_mask:0xf bank_mask:0xf// 000000011DB4: 0A2222FA FF015D9B
	v_mul_f32_dpp v18, v155, v18 row_newbcast:14 row_mask:0xf bank_mask:0xf// 000000011DBC: 0A2424FA FF015E9B
	v_mul_f32_dpp v19, v155, v19 row_newbcast:15 row_mask:0xf bank_mask:0xf// 000000011DC4: 0A2626FA FF015F9B
	v_pk_mul_f32 v[20:21], v[150:151], v[20:21]                // 000000011DCC: D3B14014 18022996
	v_pk_mul_f32 v[22:23], v[150:151], v[22:23]                // 000000011DD4: D3B14016 18022D96
	v_pk_mul_f32 v[24:25], v[150:151], v[24:25]                // 000000011DDC: D3B14018 18023196
	v_pk_mul_f32 v[26:27], v[150:151], v[26:27]                // 000000011DE4: D3B1401A 18023596
	v_pk_mul_f32 v[28:29], v[150:151], v[28:29]                // 000000011DEC: D3B1401C 18023996
	v_pk_mul_f32 v[30:31], v[150:151], v[30:31]                // 000000011DF4: D3B1401E 18023D96
	v_pk_mul_f32 v[32:33], v[150:151], v[32:33]                // 000000011DFC: D3B14020 18024196
	v_pk_mul_f32 v[34:35], v[150:151], v[34:35]                // 000000011E04: D3B14022 18024596
	v_mul_f32_dpp v20, v155, v20 row_newbcast:0 row_mask:0xf bank_mask:0xf// 000000011E0C: 0A2828FA FF01509B
	v_mul_f32_dpp v21, v155, v21 row_newbcast:1 row_mask:0xf bank_mask:0xf// 000000011E14: 0A2A2AFA FF01519B
	v_mul_f32_dpp v22, v155, v22 row_newbcast:2 row_mask:0xf bank_mask:0xf// 000000011E1C: 0A2C2CFA FF01529B
	v_mul_f32_dpp v23, v155, v23 row_newbcast:3 row_mask:0xf bank_mask:0xf// 000000011E24: 0A2E2EFA FF01539B
	v_mul_f32_dpp v24, v155, v24 row_newbcast:4 row_mask:0xf bank_mask:0xf// 000000011E2C: 0A3030FA FF01549B
	v_mul_f32_dpp v25, v155, v25 row_newbcast:5 row_mask:0xf bank_mask:0xf// 000000011E34: 0A3232FA FF01559B
	v_mul_f32_dpp v26, v155, v26 row_newbcast:6 row_mask:0xf bank_mask:0xf// 000000011E3C: 0A3434FA FF01569B
	v_mul_f32_dpp v27, v155, v27 row_newbcast:7 row_mask:0xf bank_mask:0xf// 000000011E44: 0A3636FA FF01579B
	v_mul_f32_dpp v28, v155, v28 row_newbcast:8 row_mask:0xf bank_mask:0xf// 000000011E4C: 0A3838FA FF01589B
	v_mul_f32_dpp v29, v155, v29 row_newbcast:9 row_mask:0xf bank_mask:0xf// 000000011E54: 0A3A3AFA FF01599B
	v_mul_f32_dpp v30, v155, v30 row_newbcast:10 row_mask:0xf bank_mask:0xf// 000000011E5C: 0A3C3CFA FF015A9B
	v_mul_f32_dpp v31, v155, v31 row_newbcast:11 row_mask:0xf bank_mask:0xf// 000000011E64: 0A3E3EFA FF015B9B
	v_mul_f32_dpp v32, v155, v32 row_newbcast:12 row_mask:0xf bank_mask:0xf// 000000011E6C: 0A4040FA FF015C9B
	v_mul_f32_dpp v33, v155, v33 row_newbcast:13 row_mask:0xf bank_mask:0xf// 000000011E74: 0A4242FA FF015D9B
	v_mul_f32_dpp v34, v155, v34 row_newbcast:14 row_mask:0xf bank_mask:0xf// 000000011E7C: 0A4444FA FF015E9B
	v_mul_f32_dpp v35, v155, v35 row_newbcast:15 row_mask:0xf bank_mask:0xf// 000000011E84: 0A4646FA FF015F9B
	v_pk_mul_f32 v[36:37], v[152:153], v[36:37]                // 000000011E8C: D3B14024 18024998
	v_pk_mul_f32 v[38:39], v[152:153], v[38:39]                // 000000011E94: D3B14026 18024D98
	v_pk_mul_f32 v[40:41], v[152:153], v[40:41]                // 000000011E9C: D3B14028 18025198
	v_pk_mul_f32 v[42:43], v[152:153], v[42:43]                // 000000011EA4: D3B1402A 18025598
	v_mul_f32_dpp v36, v164, v36 quad_perm:[0,0,0,0] row_mask:0xf bank_mask:0xf// 000000011EAC: 0A4848FA FF0000A4
	v_mul_f32_dpp v37, v164, v37 quad_perm:[1,1,1,1] row_mask:0xf bank_mask:0xf// 000000011EB4: 0A4A4AFA FF0055A4
	v_mul_f32_dpp v38, v164, v38 quad_perm:[2,2,2,2] row_mask:0xf bank_mask:0xf// 000000011EBC: 0A4C4CFA FF00AAA4
	v_mul_f32_dpp v39, v164, v39 quad_perm:[3,3,3,3] row_mask:0xf bank_mask:0xf// 000000011EC4: 0A4E4EFA FF00FFA4
	v_mul_f32_dpp v40, v165, v40 quad_perm:[0,0,0,0] row_mask:0xf bank_mask:0xf// 000000011ECC: 0A5050FA FF0000A5
	v_mul_f32_dpp v41, v165, v41 quad_perm:[1,1,1,1] row_mask:0xf bank_mask:0xf// 000000011ED4: 0A5252FA FF0055A5
	v_mul_f32_dpp v42, v165, v42 quad_perm:[2,2,2,2] row_mask:0xf bank_mask:0xf// 000000011EDC: 0A5454FA FF00AAA5
	v_mul_f32_dpp v43, v165, v43 quad_perm:[3,3,3,3] row_mask:0xf bank_mask:0xf// 000000011EE4: 0A5656FA FF00FFA5
	v_add_u32_e32 v168, s64, v222                              // 000000011EEC: 6951BC40
	v_add_u32_e32 v169, 0, v168                                // 000000011EF0: 69535080
	v_cmp_lt_u32_e64 s[98:99], v169, v219                      // 000000011EF4: D0C90062 0003B7A9
	s_nop 0                                                    // 000000011EFC: BF800000
	v_cndmask_b32_e64 v4, v225, v4, s[98:99]                   // 000000011F00: D1000004 018A09E1
	v_add_u32_e32 v169, 1, v168                                // 000000011F08: 69535081
	v_cmp_lt_u32_e64 s[98:99], v169, v219                      // 000000011F0C: D0C90062 0003B7A9
	s_nop 0                                                    // 000000011F14: BF800000
	v_cndmask_b32_e64 v5, v225, v5, s[98:99]                   // 000000011F18: D1000005 018A0BE1
	v_add_u32_e32 v169, 2, v168                                // 000000011F20: 69535082
	v_cmp_lt_u32_e64 s[98:99], v169, v219                      // 000000011F24: D0C90062 0003B7A9
	s_nop 0                                                    // 000000011F2C: BF800000
	v_cndmask_b32_e64 v6, v225, v6, s[98:99]                   // 000000011F30: D1000006 018A0DE1
	v_add_u32_e32 v169, 3, v168                                // 000000011F38: 69535083
	v_cmp_lt_u32_e64 s[98:99], v169, v219                      // 000000011F3C: D0C90062 0003B7A9
	s_nop 0                                                    // 000000011F44: BF800000
	v_cndmask_b32_e64 v7, v225, v7, s[98:99]                   // 000000011F48: D1000007 018A0FE1
	v_add_u32_e32 v169, 64, v168                               // 000000011F50: 695350C0
	v_cmp_lt_u32_e64 s[98:99], v169, v219                      // 000000011F54: D0C90062 0003B7A9
	s_nop 0                                                    // 000000011F5C: BF800000
	v_cndmask_b32_e64 v8, v225, v8, s[98:99]                   // 000000011F60: D1000008 018A11E1
	v_add_u32_e32 v169, 0x41, v168                             // 000000011F68: 695350FF 00000041
	v_cmp_lt_u32_e64 s[98:99], v169, v219                      // 000000011F70: D0C90062 0003B7A9
	s_nop 0                                                    // 000000011F78: BF800000
	v_cndmask_b32_e64 v9, v225, v9, s[98:99]                   // 000000011F7C: D1000009 018A13E1
	v_add_u32_e32 v169, 0x42, v168                             // 000000011F84: 695350FF 00000042
	v_cmp_lt_u32_e64 s[98:99], v169, v219                      // 000000011F8C: D0C90062 0003B7A9
	s_nop 0                                                    // 000000011F94: BF800000
	v_cndmask_b32_e64 v10, v225, v10, s[98:99]                 // 000000011F98: D100000A 018A15E1
	v_add_u32_e32 v169, 0x43, v168                             // 000000011FA0: 695350FF 00000043
	v_cmp_lt_u32_e64 s[98:99], v169, v219                      // 000000011FA8: D0C90062 0003B7A9
	s_nop 0                                                    // 000000011FB0: BF800000
	v_cndmask_b32_e64 v11, v225, v11, s[98:99]                 // 000000011FB4: D100000B 018A17E1
	v_add_u32_e32 v169, 0x80, v168                             // 000000011FBC: 695350FF 00000080
	v_cmp_lt_u32_e64 s[98:99], v169, v219                      // 000000011FC4: D0C90062 0003B7A9
	s_nop 0                                                    // 000000011FCC: BF800000
	v_cndmask_b32_e64 v12, v225, v12, s[98:99]                 // 000000011FD0: D100000C 018A19E1
	v_add_u32_e32 v169, 0x81, v168                             // 000000011FD8: 695350FF 00000081
	v_cmp_lt_u32_e64 s[98:99], v169, v219                      // 000000011FE0: D0C90062 0003B7A9
	s_nop 0                                                    // 000000011FE8: BF800000
	v_cndmask_b32_e64 v13, v225, v13, s[98:99]                 // 000000011FEC: D100000D 018A1BE1
	v_add_u32_e32 v169, 0x82, v168                             // 000000011FF4: 695350FF 00000082
	v_cmp_lt_u32_e64 s[98:99], v169, v219                      // 000000011FFC: D0C90062 0003B7A9
	s_nop 0                                                    // 000000012004: BF800000
	v_cndmask_b32_e64 v14, v225, v14, s[98:99]                 // 000000012008: D100000E 018A1DE1
	v_add_u32_e32 v169, 0x83, v168                             // 000000012010: 695350FF 00000083
	v_cmp_lt_u32_e64 s[98:99], v169, v219                      // 000000012018: D0C90062 0003B7A9
	s_nop 0                                                    // 000000012020: BF800000
	v_cndmask_b32_e64 v15, v225, v15, s[98:99]                 // 000000012024: D100000F 018A1FE1
	v_add_u32_e32 v169, 0xc0, v168                             // 00000001202C: 695350FF 000000C0
	v_cmp_lt_u32_e64 s[98:99], v169, v219                      // 000000012034: D0C90062 0003B7A9
	s_nop 0                                                    // 00000001203C: BF800000
	v_cndmask_b32_e64 v16, v225, v16, s[98:99]                 // 000000012040: D1000010 018A21E1
	v_add_u32_e32 v169, 0xc1, v168                             // 000000012048: 695350FF 000000C1
	v_cmp_lt_u32_e64 s[98:99], v169, v219                      // 000000012050: D0C90062 0003B7A9
	s_nop 0                                                    // 000000012058: BF800000
	v_cndmask_b32_e64 v17, v225, v17, s[98:99]                 // 00000001205C: D1000011 018A23E1
	v_add_u32_e32 v169, 0xc2, v168                             // 000000012064: 695350FF 000000C2
	v_cmp_lt_u32_e64 s[98:99], v169, v219                      // 00000001206C: D0C90062 0003B7A9
	s_nop 0                                                    // 000000012074: BF800000
	v_cndmask_b32_e64 v18, v225, v18, s[98:99]                 // 000000012078: D1000012 018A25E1
	v_add_u32_e32 v169, 0xc3, v168                             // 000000012080: 695350FF 000000C3
	v_cmp_lt_u32_e64 s[98:99], v169, v219                      // 000000012088: D0C90062 0003B7A9
	s_nop 0                                                    // 000000012090: BF800000
	v_cndmask_b32_e64 v19, v225, v19, s[98:99]                 // 000000012094: D1000013 018A27E1
	v_add_u32_e32 v169, 0, v168                                // 00000001209C: 69535080
	v_cmp_lt_u32_e64 s[98:99], v169, v220                      // 0000000120A0: D0C90062 0003B9A9
	s_nop 0                                                    // 0000000120A8: BF800000
	v_cndmask_b32_e64 v20, v225, v20, s[98:99]                 // 0000000120AC: D1000014 018A29E1
	v_add_u32_e32 v169, 1, v168                                // 0000000120B4: 69535081
	v_cmp_lt_u32_e64 s[98:99], v169, v220                      // 0000000120B8: D0C90062 0003B9A9
	s_nop 0                                                    // 0000000120C0: BF800000
	v_cndmask_b32_e64 v21, v225, v21, s[98:99]                 // 0000000120C4: D1000015 018A2BE1
	v_add_u32_e32 v169, 2, v168                                // 0000000120CC: 69535082
	v_cmp_lt_u32_e64 s[98:99], v169, v220                      // 0000000120D0: D0C90062 0003B9A9
	s_nop 0                                                    // 0000000120D8: BF800000
	v_cndmask_b32_e64 v22, v225, v22, s[98:99]                 // 0000000120DC: D1000016 018A2DE1
	v_add_u32_e32 v169, 3, v168                                // 0000000120E4: 69535083
	v_cmp_lt_u32_e64 s[98:99], v169, v220                      // 0000000120E8: D0C90062 0003B9A9
	s_nop 0                                                    // 0000000120F0: BF800000
	v_cndmask_b32_e64 v23, v225, v23, s[98:99]                 // 0000000120F4: D1000017 018A2FE1
	v_add_u32_e32 v169, 64, v168                               // 0000000120FC: 695350C0
	v_cmp_lt_u32_e64 s[98:99], v169, v220                      // 000000012100: D0C90062 0003B9A9
	s_nop 0                                                    // 000000012108: BF800000
	v_cndmask_b32_e64 v24, v225, v24, s[98:99]                 // 00000001210C: D1000018 018A31E1
	v_add_u32_e32 v169, 0x41, v168                             // 000000012114: 695350FF 00000041
	v_cmp_lt_u32_e64 s[98:99], v169, v220                      // 00000001211C: D0C90062 0003B9A9
	s_nop 0                                                    // 000000012124: BF800000
	v_cndmask_b32_e64 v25, v225, v25, s[98:99]                 // 000000012128: D1000019 018A33E1
	v_add_u32_e32 v169, 0x42, v168                             // 000000012130: 695350FF 00000042
	v_cmp_lt_u32_e64 s[98:99], v169, v220                      // 000000012138: D0C90062 0003B9A9
	s_nop 0                                                    // 000000012140: BF800000
	v_cndmask_b32_e64 v26, v225, v26, s[98:99]                 // 000000012144: D100001A 018A35E1
	v_add_u32_e32 v169, 0x43, v168                             // 00000001214C: 695350FF 00000043
	v_cmp_lt_u32_e64 s[98:99], v169, v220                      // 000000012154: D0C90062 0003B9A9
	s_nop 0                                                    // 00000001215C: BF800000
	v_cndmask_b32_e64 v27, v225, v27, s[98:99]                 // 000000012160: D100001B 018A37E1
	v_add_u32_e32 v169, 0x80, v168                             // 000000012168: 695350FF 00000080
	v_cmp_lt_u32_e64 s[98:99], v169, v220                      // 000000012170: D0C90062 0003B9A9
	s_nop 0                                                    // 000000012178: BF800000
	v_cndmask_b32_e64 v28, v225, v28, s[98:99]                 // 00000001217C: D100001C 018A39E1
	v_add_u32_e32 v169, 0x81, v168                             // 000000012184: 695350FF 00000081
	v_cmp_lt_u32_e64 s[98:99], v169, v220                      // 00000001218C: D0C90062 0003B9A9
	s_nop 0                                                    // 000000012194: BF800000
	v_cndmask_b32_e64 v29, v225, v29, s[98:99]                 // 000000012198: D100001D 018A3BE1
	v_add_u32_e32 v169, 0x82, v168                             // 0000000121A0: 695350FF 00000082
	v_cmp_lt_u32_e64 s[98:99], v169, v220                      // 0000000121A8: D0C90062 0003B9A9
	s_nop 0                                                    // 0000000121B0: BF800000
	v_cndmask_b32_e64 v30, v225, v30, s[98:99]                 // 0000000121B4: D100001E 018A3DE1
	v_add_u32_e32 v169, 0x83, v168                             // 0000000121BC: 695350FF 00000083
	v_cmp_lt_u32_e64 s[98:99], v169, v220                      // 0000000121C4: D0C90062 0003B9A9
	s_nop 0                                                    // 0000000121CC: BF800000
	v_cndmask_b32_e64 v31, v225, v31, s[98:99]                 // 0000000121D0: D100001F 018A3FE1
	v_add_u32_e32 v169, 0xc0, v168                             // 0000000121D8: 695350FF 000000C0
	v_cmp_lt_u32_e64 s[98:99], v169, v220                      // 0000000121E0: D0C90062 0003B9A9
	s_nop 0                                                    // 0000000121E8: BF800000
	v_cndmask_b32_e64 v32, v225, v32, s[98:99]                 // 0000000121EC: D1000020 018A41E1
	v_add_u32_e32 v169, 0xc1, v168                             // 0000000121F4: 695350FF 000000C1
	v_cmp_lt_u32_e64 s[98:99], v169, v220                      // 0000000121FC: D0C90062 0003B9A9
	s_nop 0                                                    // 000000012204: BF800000
	v_cndmask_b32_e64 v33, v225, v33, s[98:99]                 // 000000012208: D1000021 018A43E1
	v_add_u32_e32 v169, 0xc2, v168                             // 000000012210: 695350FF 000000C2
	v_cmp_lt_u32_e64 s[98:99], v169, v220                      // 000000012218: D0C90062 0003B9A9
	s_nop 0                                                    // 000000012220: BF800000
	v_cndmask_b32_e64 v34, v225, v34, s[98:99]                 // 000000012224: D1000022 018A45E1
	v_add_u32_e32 v169, 0xc3, v168                             // 00000001222C: 695350FF 000000C3
	v_cmp_lt_u32_e64 s[98:99], v169, v220                      // 000000012234: D0C90062 0003B9A9
	s_nop 0                                                    // 00000001223C: BF800000
	v_cndmask_b32_e64 v35, v225, v35, s[98:99]                 // 000000012240: D1000023 018A47E1
	v_add_u32_e32 v168, s64, v223                              // 000000012248: 6951BE40
	v_add_u32_e32 v169, 0, v168                                // 00000001224C: 69535080
	v_cmp_lt_u32_e64 s[98:99], v169, v221                      // 000000012250: D0C90062 0003BBA9
	s_nop 0                                                    // 000000012258: BF800000
	v_cndmask_b32_e64 v36, v225, v36, s[98:99]                 // 00000001225C: D1000024 018A49E1
	v_add_u32_e32 v169, 1, v168                                // 000000012264: 69535081
	v_cmp_lt_u32_e64 s[98:99], v169, v221                      // 000000012268: D0C90062 0003BBA9
	s_nop 0                                                    // 000000012270: BF800000
	v_cndmask_b32_e64 v37, v225, v37, s[98:99]                 // 000000012274: D1000025 018A4BE1
	v_add_u32_e32 v169, 2, v168                                // 00000001227C: 69535082
	v_cmp_lt_u32_e64 s[98:99], v169, v221                      // 000000012280: D0C90062 0003BBA9
	s_nop 0                                                    // 000000012288: BF800000
	v_cndmask_b32_e64 v38, v225, v38, s[98:99]                 // 00000001228C: D1000026 018A4DE1
	v_add_u32_e32 v169, 3, v168                                // 000000012294: 69535083
	v_cmp_lt_u32_e64 s[98:99], v169, v221                      // 000000012298: D0C90062 0003BBA9
	s_nop 0                                                    // 0000000122A0: BF800000
	v_cndmask_b32_e64 v39, v225, v39, s[98:99]                 // 0000000122A4: D1000027 018A4FE1
	v_add_u32_e32 v169, 64, v168                               // 0000000122AC: 695350C0
	v_cmp_lt_u32_e64 s[98:99], v169, v221                      // 0000000122B0: D0C90062 0003BBA9
	s_nop 0                                                    // 0000000122B8: BF800000
	v_cndmask_b32_e64 v40, v225, v40, s[98:99]                 // 0000000122BC: D1000028 018A51E1
	v_add_u32_e32 v169, 0x41, v168                             // 0000000122C4: 695350FF 00000041
	v_cmp_lt_u32_e64 s[98:99], v169, v221                      // 0000000122CC: D0C90062 0003BBA9
	s_nop 0                                                    // 0000000122D4: BF800000
	v_cndmask_b32_e64 v41, v225, v41, s[98:99]                 // 0000000122D8: D1000029 018A53E1
	v_add_u32_e32 v169, 0x42, v168                             // 0000000122E0: 695350FF 00000042
	v_cmp_lt_u32_e64 s[98:99], v169, v221                      // 0000000122E8: D0C90062 0003BBA9
	s_nop 0                                                    // 0000000122F0: BF800000
	v_cndmask_b32_e64 v42, v225, v42, s[98:99]                 // 0000000122F4: D100002A 018A55E1
	v_add_u32_e32 v169, 0x43, v168                             // 0000000122FC: 695350FF 00000043
	v_cmp_lt_u32_e64 s[98:99], v169, v221                      // 000000012304: D0C90062 0003BBA9
	s_nop 0                                                    // 00000001230C: BF800000
	v_cndmask_b32_e64 v43, v225, v43, s[98:99]                 // 000000012310: D100002B 018A57E1
	v_mov_b32_e32 v190, v36                                    // 000000012318: 7F7C0324
	v_max3_f32 v190, v36, v37, v190                            // 00000001231C: D1D300BE 06FA4B24
	v_max3_f32 v190, v38, v39, v190                            // 000000012324: D1D300BE 06FA4F26
	v_max3_f32 v190, v40, v41, v190                            // 00000001232C: D1D300BE 06FA5328
	v_max3_f32 v190, v42, v43, v190                            // 000000012334: D1D300BE 06FA572A
	v_mov_b32_e32 v189, v20                                    // 00000001233C: 7F7A0314
	v_max3_f32 v189, v20, v21, v189                            // 000000012340: D1D300BD 06F62B14
	v_max3_f32 v189, v22, v23, v189                            // 000000012348: D1D300BD 06F62F16
	v_max3_f32 v189, v24, v25, v189                            // 000000012350: D1D300BD 06F63318
	v_max3_f32 v189, v26, v27, v189                            // 000000012358: D1D300BD 06F6371A
	v_max3_f32 v189, v28, v29, v189                            // 000000012360: D1D300BD 06F63B1C
	v_max3_f32 v189, v30, v31, v189                            // 000000012368: D1D300BD 06F63F1E
	v_max3_f32 v189, v32, v33, v189                            // 000000012370: D1D300BD 06F64320
	v_max3_f32 v189, v34, v35, v189                            // 000000012378: D1D300BD 06F64722
	v_mov_b32_e32 v188, v4                                     // 000000012380: 7F780304
	v_max3_f32 v188, v4, v5, v188                              // 000000012384: D1D300BC 06F20B04
	v_max3_f32 v188, v6, v7, v188                              // 00000001238C: D1D300BC 06F20F06
	v_max3_f32 v188, v8, v9, v188                              // 000000012394: D1D300BC 06F21308
	v_max3_f32 v188, v10, v11, v188                            // 00000001239C: D1D300BC 06F2170A
	v_max3_f32 v188, v12, v13, v188                            // 0000000123A4: D1D300BC 06F21B0C
	v_max3_f32 v188, v14, v15, v188                            // 0000000123AC: D1D300BC 06F21F0E
	v_max3_f32 v188, v16, v17, v188                            // 0000000123B4: D1D300BC 06F22310
	v_max3_f32 v188, v18, v19, v188                            // 0000000123BC: D1D300BC 06F22712
	v_max_f32_dpp v190, v190, v190 row_ror:8 row_mask:0xf bank_mask:0xf// 0000000123C4: 177D7CFA FF0128BE
	ds_bpermute_b32 v172, v212, v188                           // 0000000123CC: D87E0000 AC00BCD4
	ds_bpermute_b32 v173, v213, v188                           // 0000000123D4: D87E0000 AD00BCD5
	ds_bpermute_b32 v174, v214, v188                           // 0000000123DC: D87E0000 AE00BCD6
	ds_bpermute_b32 v175, v212, v189                           // 0000000123E4: D87E0000 AF00BDD4
	ds_bpermute_b32 v176, v213, v189                           // 0000000123EC: D87E0000 B000BDD5
	ds_bpermute_b32 v177, v214, v189                           // 0000000123F4: D87E0000 B100BDD6
	ds_bpermute_b32 v178, v212, v190                           // 0000000123FC: D87E0000 B200BED4
	ds_bpermute_b32 v179, v213, v190                           // 000000012404: D87E0000 B300BED5
	ds_bpermute_b32 v180, v214, v190                           // 00000001240C: D87E0000 B400BED6
	v_pk_mul_f32 v[124:125], v[200:201], v[124:125]            // 000000012414: D3B1407C 1802F9C8
	v_pk_mul_f32 v[126:127], v[200:201], v[126:127]            // 00000001241C: D3B1407E 1802FDC8
	v_pk_mul_f32 v[128:129], v[200:201], v[128:129]            // 000000012424: D3B14080 180301C8
	v_pk_mul_f32 v[130:131], v[200:201], v[130:131]            // 00000001242C: D3B14082 180305C8
	v_pk_mul_f32 v[132:133], v[202:203], v[132:133]            // 000000012434: D3B14084 180309CA
	v_pk_mul_f32 v[134:135], v[202:203], v[134:135]            // 00000001243C: D3B14086 18030DCA
	v_pk_mul_f32 v[136:137], v[202:203], v[136:137]            // 000000012444: D3B14088 180311CA
	v_pk_mul_f32 v[138:139], v[202:203], v[138:139]            // 00000001244C: D3B1408A 180315CA
	v_pk_mul_f32 v[140:141], v[204:205], v[140:141]            // 000000012454: D3B1408C 180319CC
	v_pk_mul_f32 v[142:143], v[204:205], v[142:143]            // 00000001245C: D3B1408E 18031DCC
	v_pk_mul_f32 v[144:145], v[204:205], v[144:145]            // 000000012464: D3B14090 180321CC
	v_pk_mul_f32 v[146:147], v[204:205], v[146:147]            // 00000001246C: D3B14092 180325CC
	s_waitcnt lgkmcnt(6)                                       // 000000012474: BF8CC67F
	v_max3_f32 v188, v172, v173, v188                          // 000000012478: D1D300BC 06F35BAC
	v_max_f32_e32 v188, v174, v188                             // 000000012480: 177979AE
	s_waitcnt lgkmcnt(3)                                       // 000000012484: BF8CC37F
	v_max3_f32 v189, v175, v176, v189                          // 000000012488: D1D300BD 06F761AF
	v_max_f32_e32 v189, v177, v189                             // 000000012490: 177B7BB1
	s_waitcnt lgkmcnt(0)                                       // 000000012494: BF8CC07F
	v_max3_f32 v190, v178, v179, v190                          // 000000012498: D1D300BE 06FB67B2
	v_max_f32_e32 v190, v180, v190                             // 0000000124A0: 177D7DB4
	ds_write_b128 v252, v[188:191]                             // 0000000124A4: D9BE0000 0000BCFC
	s_waitcnt lgkmcnt(0)                                       // 0000000124AC: BF8CC07F
	s_barrier                                                  // 0000000124B0: BF8A0000
	ds_read_b128 v[172:175], v253                              // 0000000124B4: D9FE0000 AC0000FD
	ds_read_b128 v[176:179], v253 offset:256                   // 0000000124BC: D9FE0100 B00000FD
	ds_read_b128 v[180:183], v253 offset:512                   // 0000000124C4: D9FE0200 B40000FD
	ds_read_b128 v[184:187], v253 offset:768                   // 0000000124CC: D9FE0300 B80000FD
	v_pk_mul_f32 v[100:101], v[158:159], v[100:101]            // 0000000124D4: D3B14064 1802C99E
	v_pk_mul_f32 v[102:103], v[158:159], v[102:103]            // 0000000124DC: D3B14066 1802CD9E
	v_pk_mul_f32 v[104:105], v[158:159], v[104:105]            // 0000000124E4: D3B14068 1802D19E
	v_pk_mul_f32 v[106:107], v[158:159], v[106:107]            // 0000000124EC: D3B1406A 1802D59E
	v_pk_mul_f32 v[108:109], v[160:161], v[108:109]            // 0000000124F4: D3B1406C 1802D9A0
	v_pk_mul_f32 v[110:111], v[160:161], v[110:111]            // 0000000124FC: D3B1406E 1802DDA0
	v_pk_mul_f32 v[112:113], v[160:161], v[112:113]            // 000000012504: D3B14070 1802E1A0
	v_pk_mul_f32 v[114:115], v[160:161], v[114:115]            // 00000001250C: D3B14072 1802E5A0
	v_pk_mul_f32 v[116:117], v[162:163], v[116:117]            // 000000012514: D3B14074 1802E9A2
	v_pk_mul_f32 v[118:119], v[162:163], v[118:119]            // 00000001251C: D3B14076 1802EDA2
	v_pk_mul_f32 v[120:121], v[162:163], v[120:121]            // 000000012524: D3B14078 1802F1A2
	v_pk_mul_f32 v[122:123], v[162:163], v[122:123]            // 00000001252C: D3B1407A 1802F5A2
	s_waitcnt lgkmcnt(0)                                       // 000000012534: BF8CC07F
	v_max3_f32 v188, v172, v176, v188                          // 000000012538: D1D300BC 06F361AC
	v_max3_f32 v189, v173, v177, v189                          // 000000012540: D1D300BD 06F763AD
	v_max3_f32 v190, v174, v178, v190                          // 000000012548: D1D300BE 06FB65AE
	v_max3_f32 v188, v180, v184, v188                          // 000000012550: D1D300BC 06F371B4
	v_max3_f32 v189, v181, v185, v189                          // 000000012558: D1D300BD 06F773B5
	v_max3_f32 v190, v182, v186, v190                          // 000000012560: D1D300BE 06FB75B6
	v_max_f32_e32 v197, v188, v194                             // 000000012568: 178B85BC
	v_mul_f32_e64 v168, -s46, v197                             // 00000001256C: D10500A8 20038A2E
	v_mov_b32_e32 v169, v168                                   // 000000012574: 7F5203A8
	v_pk_fma_f32 v[4:5], v[4:5], s[46:47], v[168:169]          // 000000012578: D3B04004 1EA05D04
	v_pk_fma_f32 v[6:7], v[6:7], s[46:47], v[168:169]          // 000000012580: D3B04006 1EA05D06
	v_exp_f32_e32 v4, v4                                       // 000000012588: 7E084104
	v_exp_f32_e32 v5, v5                                       // 00000001258C: 7E0A4105
	v_exp_f32_e32 v6, v6                                       // 000000012590: 7E0C4106
	v_exp_f32_e32 v7, v7                                       // 000000012594: 7E0E4107
	v_pk_fma_f32 v[8:9], v[8:9], s[46:47], v[168:169]          // 000000012598: D3B04008 1EA05D08
	v_pk_fma_f32 v[10:11], v[10:11], s[46:47], v[168:169]      // 0000000125A0: D3B0400A 1EA05D0A
	v_exp_f32_e32 v8, v8                                       // 0000000125A8: 7E104108
	v_exp_f32_e32 v9, v9                                       // 0000000125AC: 7E124109
	v_exp_f32_e32 v10, v10                                     // 0000000125B0: 7E14410A
	v_exp_f32_e32 v11, v11                                     // 0000000125B4: 7E16410B
	v_pk_fma_f32 v[12:13], v[12:13], s[46:47], v[168:169]      // 0000000125B8: D3B0400C 1EA05D0C
	v_pk_fma_f32 v[14:15], v[14:15], s[46:47], v[168:169]      // 0000000125C0: D3B0400E 1EA05D0E
	v_exp_f32_e32 v12, v12                                     // 0000000125C8: 7E18410C
	v_exp_f32_e32 v13, v13                                     // 0000000125CC: 7E1A410D
	v_exp_f32_e32 v14, v14                                     // 0000000125D0: 7E1C410E
	v_exp_f32_e32 v15, v15                                     // 0000000125D4: 7E1E410F
	v_pk_fma_f32 v[16:17], v[16:17], s[46:47], v[168:169]      // 0000000125D8: D3B04010 1EA05D10
	v_pk_fma_f32 v[18:19], v[18:19], s[46:47], v[168:169]      // 0000000125E0: D3B04012 1EA05D12
	v_exp_f32_e32 v16, v16                                     // 0000000125E8: 7E204110
	v_exp_f32_e32 v17, v17                                     // 0000000125EC: 7E224111
	v_exp_f32_e32 v18, v18                                     // 0000000125F0: 7E244112
	v_exp_f32_e32 v19, v19                                     // 0000000125F4: 7E264113
	v_max_f32_e32 v198, v189, v195                             // 0000000125F8: 178D87BD
	v_mul_f32_e64 v168, -s46, v198                             // 0000000125FC: D10500A8 20038C2E
	v_mov_b32_e32 v169, v168                                   // 000000012604: 7F5203A8
	v_pk_fma_f32 v[20:21], v[20:21], s[46:47], v[168:169]      // 000000012608: D3B04014 1EA05D14
	v_pk_fma_f32 v[22:23], v[22:23], s[46:47], v[168:169]      // 000000012610: D3B04016 1EA05D16
	v_exp_f32_e32 v20, v20                                     // 000000012618: 7E284114
	v_exp_f32_e32 v21, v21                                     // 00000001261C: 7E2A4115
	v_exp_f32_e32 v22, v22                                     // 000000012620: 7E2C4116
	v_exp_f32_e32 v23, v23                                     // 000000012624: 7E2E4117
	v_pk_fma_f32 v[24:25], v[24:25], s[46:47], v[168:169]      // 000000012628: D3B04018 1EA05D18
	v_pk_fma_f32 v[26:27], v[26:27], s[46:47], v[168:169]      // 000000012630: D3B0401A 1EA05D1A
	v_exp_f32_e32 v24, v24                                     // 000000012638: 7E304118
	v_exp_f32_e32 v25, v25                                     // 00000001263C: 7E324119
	v_exp_f32_e32 v26, v26                                     // 000000012640: 7E34411A
	v_exp_f32_e32 v27, v27                                     // 000000012644: 7E36411B
	v_pk_fma_f32 v[28:29], v[28:29], s[46:47], v[168:169]      // 000000012648: D3B0401C 1EA05D1C
	v_pk_fma_f32 v[30:31], v[30:31], s[46:47], v[168:169]      // 000000012650: D3B0401E 1EA05D1E
	v_exp_f32_e32 v28, v28                                     // 000000012658: 7E38411C
	v_exp_f32_e32 v29, v29                                     // 00000001265C: 7E3A411D
	v_exp_f32_e32 v30, v30                                     // 000000012660: 7E3C411E
	v_exp_f32_e32 v31, v31                                     // 000000012664: 7E3E411F
	v_pk_fma_f32 v[32:33], v[32:33], s[46:47], v[168:169]      // 000000012668: D3B04020 1EA05D20
	v_pk_fma_f32 v[34:35], v[34:35], s[46:47], v[168:169]      // 000000012670: D3B04022 1EA05D22
	v_exp_f32_e32 v32, v32                                     // 000000012678: 7E404120
	v_exp_f32_e32 v33, v33                                     // 00000001267C: 7E424121
	v_exp_f32_e32 v34, v34                                     // 000000012680: 7E444122
	v_exp_f32_e32 v35, v35                                     // 000000012684: 7E464123
	v_max_f32_e32 v199, v190, v196                             // 000000012688: 178F89BE
	v_mul_f32_e64 v168, -s46, v199                             // 00000001268C: D10500A8 20038E2E
	v_mov_b32_e32 v169, v168                                   // 000000012694: 7F5203A8
	v_pk_fma_f32 v[36:37], v[36:37], s[46:47], v[168:169]      // 000000012698: D3B04024 1EA05D24
	v_pk_fma_f32 v[38:39], v[38:39], s[46:47], v[168:169]      // 0000000126A0: D3B04026 1EA05D26
	v_exp_f32_e32 v36, v36                                     // 0000000126A8: 7E484124
	v_exp_f32_e32 v37, v37                                     // 0000000126AC: 7E4A4125
	v_exp_f32_e32 v38, v38                                     // 0000000126B0: 7E4C4126
	v_exp_f32_e32 v39, v39                                     // 0000000126B4: 7E4E4127
	v_pk_fma_f32 v[40:41], v[40:41], s[46:47], v[168:169]      // 0000000126B8: D3B04028 1EA05D28
	v_pk_fma_f32 v[42:43], v[42:43], s[46:47], v[168:169]      // 0000000126C0: D3B0402A 1EA05D2A
	v_exp_f32_e32 v40, v40                                     // 0000000126C8: 7E504128
	v_exp_f32_e32 v41, v41                                     // 0000000126CC: 7E524129
	v_exp_f32_e32 v42, v42                                     // 0000000126D0: 7E54412A
	v_exp_f32_e32 v43, v43                                     // 0000000126D4: 7E56412B
	v_mul_f32_dpp v52, v157, v4 row_newbcast:0 row_mask:0xf bank_mask:0xf// 0000000126D8: 0A6808FA FF01509D
	v_mul_f32_dpp v53, v157, v5 row_newbcast:1 row_mask:0xf bank_mask:0xf// 0000000126E0: 0A6A0AFA FF01519D
	v_mul_f32_dpp v54, v157, v6 row_newbcast:2 row_mask:0xf bank_mask:0xf// 0000000126E8: 0A6C0CFA FF01529D
	v_mul_f32_dpp v55, v157, v7 row_newbcast:3 row_mask:0xf bank_mask:0xf// 0000000126F0: 0A6E0EFA FF01539D
	v_mul_f32_dpp v56, v157, v8 row_newbcast:4 row_mask:0xf bank_mask:0xf// 0000000126F8: 0A7010FA FF01549D
	v_mul_f32_dpp v57, v157, v9 row_newbcast:5 row_mask:0xf bank_mask:0xf// 000000012700: 0A7212FA FF01559D
	v_mul_f32_dpp v58, v157, v10 row_newbcast:6 row_mask:0xf bank_mask:0xf// 000000012708: 0A7414FA FF01569D
	v_mul_f32_dpp v59, v157, v11 row_newbcast:7 row_mask:0xf bank_mask:0xf// 000000012710: 0A7616FA FF01579D
	v_mul_f32_dpp v60, v157, v12 row_newbcast:8 row_mask:0xf bank_mask:0xf// 000000012718: 0A7818FA FF01589D
	v_mul_f32_dpp v61, v157, v13 row_newbcast:9 row_mask:0xf bank_mask:0xf// 000000012720: 0A7A1AFA FF01599D
	v_mul_f32_dpp v62, v157, v14 row_newbcast:10 row_mask:0xf bank_mask:0xf// 000000012728: 0A7C1CFA FF015A9D
	v_mul_f32_dpp v63, v157, v15 row_newbcast:11 row_mask:0xf bank_mask:0xf// 000000012730: 0A7E1EFA FF015B9D
	v_mul_f32_dpp v64, v157, v16 row_newbcast:12 row_mask:0xf bank_mask:0xf// 000000012738: 0A8020FA FF015C9D
	v_mul_f32_dpp v65, v157, v17 row_newbcast:13 row_mask:0xf bank_mask:0xf// 000000012740: 0A8222FA FF015D9D
	v_mul_f32_dpp v66, v157, v18 row_newbcast:14 row_mask:0xf bank_mask:0xf// 000000012748: 0A8424FA FF015E9D
	v_mul_f32_dpp v67, v157, v19 row_newbcast:15 row_mask:0xf bank_mask:0xf// 000000012750: 0A8626FA FF015F9D
	v_mul_f32_dpp v68, v157, v20 row_newbcast:0 row_mask:0xf bank_mask:0xf// 000000012758: 0A8828FA FF01509D
	v_mul_f32_dpp v69, v157, v21 row_newbcast:1 row_mask:0xf bank_mask:0xf// 000000012760: 0A8A2AFA FF01519D
	v_mul_f32_dpp v70, v157, v22 row_newbcast:2 row_mask:0xf bank_mask:0xf// 000000012768: 0A8C2CFA FF01529D
	v_mul_f32_dpp v71, v157, v23 row_newbcast:3 row_mask:0xf bank_mask:0xf// 000000012770: 0A8E2EFA FF01539D
	v_mul_f32_dpp v72, v157, v24 row_newbcast:4 row_mask:0xf bank_mask:0xf// 000000012778: 0A9030FA FF01549D
	v_mul_f32_dpp v73, v157, v25 row_newbcast:5 row_mask:0xf bank_mask:0xf// 000000012780: 0A9232FA FF01559D
	v_mul_f32_dpp v74, v157, v26 row_newbcast:6 row_mask:0xf bank_mask:0xf// 000000012788: 0A9434FA FF01569D
	v_mul_f32_dpp v75, v157, v27 row_newbcast:7 row_mask:0xf bank_mask:0xf// 000000012790: 0A9636FA FF01579D
	v_mul_f32_dpp v76, v157, v28 row_newbcast:8 row_mask:0xf bank_mask:0xf// 000000012798: 0A9838FA FF01589D
	v_mul_f32_dpp v77, v157, v29 row_newbcast:9 row_mask:0xf bank_mask:0xf// 0000000127A0: 0A9A3AFA FF01599D
	v_mul_f32_dpp v78, v157, v30 row_newbcast:10 row_mask:0xf bank_mask:0xf// 0000000127A8: 0A9C3CFA FF015A9D
	v_mul_f32_dpp v79, v157, v31 row_newbcast:11 row_mask:0xf bank_mask:0xf// 0000000127B0: 0A9E3EFA FF015B9D
	v_mul_f32_dpp v80, v157, v32 row_newbcast:12 row_mask:0xf bank_mask:0xf// 0000000127B8: 0AA040FA FF015C9D
	v_mul_f32_dpp v81, v157, v33 row_newbcast:13 row_mask:0xf bank_mask:0xf// 0000000127C0: 0AA242FA FF015D9D
	v_mul_f32_dpp v82, v157, v34 row_newbcast:14 row_mask:0xf bank_mask:0xf// 0000000127C8: 0AA444FA FF015E9D
	v_mul_f32_dpp v83, v157, v35 row_newbcast:15 row_mask:0xf bank_mask:0xf// 0000000127D0: 0AA646FA FF015F9D
	v_mul_f32_dpp v84, v166, v36 quad_perm:[0,0,0,0] row_mask:0xf bank_mask:0xf// 0000000127D8: 0AA848FA FF0000A6
	v_mul_f32_dpp v85, v166, v37 quad_perm:[1,1,1,1] row_mask:0xf bank_mask:0xf// 0000000127E0: 0AAA4AFA FF0055A6
	v_mul_f32_dpp v86, v166, v38 quad_perm:[2,2,2,2] row_mask:0xf bank_mask:0xf// 0000000127E8: 0AAC4CFA FF00AAA6
	v_mul_f32_dpp v87, v166, v39 quad_perm:[3,3,3,3] row_mask:0xf bank_mask:0xf// 0000000127F0: 0AAE4EFA FF00FFA6
	v_mul_f32_dpp v88, v167, v40 quad_perm:[0,0,0,0] row_mask:0xf bank_mask:0xf// 0000000127F8: 0AB050FA FF0000A7
	v_mul_f32_dpp v89, v167, v41 quad_perm:[1,1,1,1] row_mask:0xf bank_mask:0xf// 000000012800: 0AB252FA FF0055A7
	v_mul_f32_dpp v90, v167, v42 quad_perm:[2,2,2,2] row_mask:0xf bank_mask:0xf// 000000012808: 0AB454FA FF00AAA7
	v_mul_f32_dpp v91, v167, v43 quad_perm:[3,3,3,3] row_mask:0xf bank_mask:0xf// 000000012810: 0AB656FA FF00FFA7
	v_add_u32_e32 v168, s64, v222                              // 000000012818: 6951BC40
	v_add_u32_e32 v169, 0, v168                                // 00000001281C: 69535080
	v_cmp_lt_u32_e32 vcc, v169, v219                           // 000000012820: 7D93B7A9
	s_nop 0                                                    // 000000012824: BF800000
	v_cndmask_b32_e32 v52, 0, v52, vcc                         // 000000012828: 00686880
	v_add_u32_e32 v169, 1, v168                                // 00000001282C: 69535081
	v_cmp_lt_u32_e32 vcc, v169, v219                           // 000000012830: 7D93B7A9
	s_nop 0                                                    // 000000012834: BF800000
	v_cndmask_b32_e32 v53, 0, v53, vcc                         // 000000012838: 006A6A80
	v_add_u32_e32 v169, 2, v168                                // 00000001283C: 69535082
	v_cmp_lt_u32_e32 vcc, v169, v219                           // 000000012840: 7D93B7A9
	s_nop 0                                                    // 000000012844: BF800000
	v_cndmask_b32_e32 v54, 0, v54, vcc                         // 000000012848: 006C6C80
	v_add_u32_e32 v169, 3, v168                                // 00000001284C: 69535083
	v_cmp_lt_u32_e32 vcc, v169, v219                           // 000000012850: 7D93B7A9
	s_nop 0                                                    // 000000012854: BF800000
	v_cndmask_b32_e32 v55, 0, v55, vcc                         // 000000012858: 006E6E80
	v_add_u32_e32 v169, 64, v168                               // 00000001285C: 695350C0
	v_cmp_lt_u32_e32 vcc, v169, v219                           // 000000012860: 7D93B7A9
	s_nop 0                                                    // 000000012864: BF800000
	v_cndmask_b32_e32 v56, 0, v56, vcc                         // 000000012868: 00707080
	v_add_u32_e32 v169, 0x41, v168                             // 00000001286C: 695350FF 00000041
	v_cmp_lt_u32_e32 vcc, v169, v219                           // 000000012874: 7D93B7A9
	s_nop 0                                                    // 000000012878: BF800000
	v_cndmask_b32_e32 v57, 0, v57, vcc                         // 00000001287C: 00727280
	v_add_u32_e32 v169, 0x42, v168                             // 000000012880: 695350FF 00000042
	v_cmp_lt_u32_e32 vcc, v169, v219                           // 000000012888: 7D93B7A9
	s_nop 0                                                    // 00000001288C: BF800000
	v_cndmask_b32_e32 v58, 0, v58, vcc                         // 000000012890: 00747480
	v_add_u32_e32 v169, 0x43, v168                             // 000000012894: 695350FF 00000043
	v_cmp_lt_u32_e32 vcc, v169, v219                           // 00000001289C: 7D93B7A9
	s_nop 0                                                    // 0000000128A0: BF800000
	v_cndmask_b32_e32 v59, 0, v59, vcc                         // 0000000128A4: 00767680
	v_add_u32_e32 v169, 0x80, v168                             // 0000000128A8: 695350FF 00000080
	v_cmp_lt_u32_e32 vcc, v169, v219                           // 0000000128B0: 7D93B7A9
	s_nop 0                                                    // 0000000128B4: BF800000
	v_cndmask_b32_e32 v60, 0, v60, vcc                         // 0000000128B8: 00787880
	v_add_u32_e32 v169, 0x81, v168                             // 0000000128BC: 695350FF 00000081
	v_cmp_lt_u32_e32 vcc, v169, v219                           // 0000000128C4: 7D93B7A9
	s_nop 0                                                    // 0000000128C8: BF800000
	v_cndmask_b32_e32 v61, 0, v61, vcc                         // 0000000128CC: 007A7A80
	v_add_u32_e32 v169, 0x82, v168                             // 0000000128D0: 695350FF 00000082
	v_cmp_lt_u32_e32 vcc, v169, v219                           // 0000000128D8: 7D93B7A9
	s_nop 0                                                    // 0000000128DC: BF800000
	v_cndmask_b32_e32 v62, 0, v62, vcc                         // 0000000128E0: 007C7C80
	v_add_u32_e32 v169, 0x83, v168                             // 0000000128E4: 695350FF 00000083
	v_cmp_lt_u32_e32 vcc, v169, v219                           // 0000000128EC: 7D93B7A9
	s_nop 0                                                    // 0000000128F0: BF800000
	v_cndmask_b32_e32 v63, 0, v63, vcc                         // 0000000128F4: 007E7E80
	v_add_u32_e32 v169, 0xc0, v168                             // 0000000128F8: 695350FF 000000C0
	v_cmp_lt_u32_e32 vcc, v169, v219                           // 000000012900: 7D93B7A9
	s_nop 0                                                    // 000000012904: BF800000
	v_cndmask_b32_e32 v64, 0, v64, vcc                         // 000000012908: 00808080
	v_add_u32_e32 v169, 0xc1, v168                             // 00000001290C: 695350FF 000000C1
	v_cmp_lt_u32_e32 vcc, v169, v219                           // 000000012914: 7D93B7A9
	s_nop 0                                                    // 000000012918: BF800000
	v_cndmask_b32_e32 v65, 0, v65, vcc                         // 00000001291C: 00828280
	v_add_u32_e32 v169, 0xc2, v168                             // 000000012920: 695350FF 000000C2
	v_cmp_lt_u32_e32 vcc, v169, v219                           // 000000012928: 7D93B7A9
	s_nop 0                                                    // 00000001292C: BF800000
	v_cndmask_b32_e32 v66, 0, v66, vcc                         // 000000012930: 00848480
	v_add_u32_e32 v169, 0xc3, v168                             // 000000012934: 695350FF 000000C3
	v_cmp_lt_u32_e32 vcc, v169, v219                           // 00000001293C: 7D93B7A9
	s_nop 0                                                    // 000000012940: BF800000
	v_cndmask_b32_e32 v67, 0, v67, vcc                         // 000000012944: 00868680
	v_add_u32_e32 v169, 0, v168                                // 000000012948: 69535080
	v_cmp_lt_u32_e32 vcc, v169, v220                           // 00000001294C: 7D93B9A9
	s_nop 0                                                    // 000000012950: BF800000
	v_cndmask_b32_e32 v68, 0, v68, vcc                         // 000000012954: 00888880
	v_add_u32_e32 v169, 1, v168                                // 000000012958: 69535081
	v_cmp_lt_u32_e32 vcc, v169, v220                           // 00000001295C: 7D93B9A9
	s_nop 0                                                    // 000000012960: BF800000
	v_cndmask_b32_e32 v69, 0, v69, vcc                         // 000000012964: 008A8A80
	v_add_u32_e32 v169, 2, v168                                // 000000012968: 69535082
	v_cmp_lt_u32_e32 vcc, v169, v220                           // 00000001296C: 7D93B9A9
	s_nop 0                                                    // 000000012970: BF800000
	v_cndmask_b32_e32 v70, 0, v70, vcc                         // 000000012974: 008C8C80
	v_add_u32_e32 v169, 3, v168                                // 000000012978: 69535083
	v_cmp_lt_u32_e32 vcc, v169, v220                           // 00000001297C: 7D93B9A9
	s_nop 0                                                    // 000000012980: BF800000
	v_cndmask_b32_e32 v71, 0, v71, vcc                         // 000000012984: 008E8E80
	v_add_u32_e32 v169, 64, v168                               // 000000012988: 695350C0
	v_cmp_lt_u32_e32 vcc, v169, v220                           // 00000001298C: 7D93B9A9
	s_nop 0                                                    // 000000012990: BF800000
	v_cndmask_b32_e32 v72, 0, v72, vcc                         // 000000012994: 00909080
	v_add_u32_e32 v169, 0x41, v168                             // 000000012998: 695350FF 00000041
	v_cmp_lt_u32_e32 vcc, v169, v220                           // 0000000129A0: 7D93B9A9
	s_nop 0                                                    // 0000000129A4: BF800000
	v_cndmask_b32_e32 v73, 0, v73, vcc                         // 0000000129A8: 00929280
	v_add_u32_e32 v169, 0x42, v168                             // 0000000129AC: 695350FF 00000042
	v_cmp_lt_u32_e32 vcc, v169, v220                           // 0000000129B4: 7D93B9A9
	s_nop 0                                                    // 0000000129B8: BF800000
	v_cndmask_b32_e32 v74, 0, v74, vcc                         // 0000000129BC: 00949480
	v_add_u32_e32 v169, 0x43, v168                             // 0000000129C0: 695350FF 00000043
	v_cmp_lt_u32_e32 vcc, v169, v220                           // 0000000129C8: 7D93B9A9
	s_nop 0                                                    // 0000000129CC: BF800000
	v_cndmask_b32_e32 v75, 0, v75, vcc                         // 0000000129D0: 00969680
	v_add_u32_e32 v169, 0x80, v168                             // 0000000129D4: 695350FF 00000080
	v_cmp_lt_u32_e32 vcc, v169, v220                           // 0000000129DC: 7D93B9A9
	s_nop 0                                                    // 0000000129E0: BF800000
	v_cndmask_b32_e32 v76, 0, v76, vcc                         // 0000000129E4: 00989880
	v_add_u32_e32 v169, 0x81, v168                             // 0000000129E8: 695350FF 00000081
	v_cmp_lt_u32_e32 vcc, v169, v220                           // 0000000129F0: 7D93B9A9
	s_nop 0                                                    // 0000000129F4: BF800000
	v_cndmask_b32_e32 v77, 0, v77, vcc                         // 0000000129F8: 009A9A80
	v_add_u32_e32 v169, 0x82, v168                             // 0000000129FC: 695350FF 00000082
	v_cmp_lt_u32_e32 vcc, v169, v220                           // 000000012A04: 7D93B9A9
	s_nop 0                                                    // 000000012A08: BF800000
	v_cndmask_b32_e32 v78, 0, v78, vcc                         // 000000012A0C: 009C9C80
	v_add_u32_e32 v169, 0x83, v168                             // 000000012A10: 695350FF 00000083
	v_cmp_lt_u32_e32 vcc, v169, v220                           // 000000012A18: 7D93B9A9
	s_nop 0                                                    // 000000012A1C: BF800000
	v_cndmask_b32_e32 v79, 0, v79, vcc                         // 000000012A20: 009E9E80
	v_add_u32_e32 v169, 0xc0, v168                             // 000000012A24: 695350FF 000000C0
	v_cmp_lt_u32_e32 vcc, v169, v220                           // 000000012A2C: 7D93B9A9
	s_nop 0                                                    // 000000012A30: BF800000
	v_cndmask_b32_e32 v80, 0, v80, vcc                         // 000000012A34: 00A0A080
	v_add_u32_e32 v169, 0xc1, v168                             // 000000012A38: 695350FF 000000C1
	v_cmp_lt_u32_e32 vcc, v169, v220                           // 000000012A40: 7D93B9A9
	s_nop 0                                                    // 000000012A44: BF800000
	v_cndmask_b32_e32 v81, 0, v81, vcc                         // 000000012A48: 00A2A280
	v_add_u32_e32 v169, 0xc2, v168                             // 000000012A4C: 695350FF 000000C2
	v_cmp_lt_u32_e32 vcc, v169, v220                           // 000000012A54: 7D93B9A9
	s_nop 0                                                    // 000000012A58: BF800000
	v_cndmask_b32_e32 v82, 0, v82, vcc                         // 000000012A5C: 00A4A480
	v_add_u32_e32 v169, 0xc3, v168                             // 000000012A60: 695350FF 000000C3
	v_cmp_lt_u32_e32 vcc, v169, v220                           // 000000012A68: 7D93B9A9
	s_nop 0                                                    // 000000012A6C: BF800000
	v_cndmask_b32_e32 v83, 0, v83, vcc                         // 000000012A70: 00A6A680
	v_add_u32_e32 v168, s64, v223                              // 000000012A74: 6951BE40
	v_add_u32_e32 v169, 0, v168                                // 000000012A78: 69535080
	v_cmp_lt_u32_e32 vcc, v169, v221                           // 000000012A7C: 7D93BBA9
	s_nop 0                                                    // 000000012A80: BF800000
	v_cndmask_b32_e32 v84, 0, v84, vcc                         // 000000012A84: 00A8A880
	v_add_u32_e32 v169, 1, v168                                // 000000012A88: 69535081
	v_cmp_lt_u32_e32 vcc, v169, v221                           // 000000012A8C: 7D93BBA9
	s_nop 0                                                    // 000000012A90: BF800000
	v_cndmask_b32_e32 v85, 0, v85, vcc                         // 000000012A94: 00AAAA80
	v_add_u32_e32 v169, 2, v168                                // 000000012A98: 69535082
	v_cmp_lt_u32_e32 vcc, v169, v221                           // 000000012A9C: 7D93BBA9
	s_nop 0                                                    // 000000012AA0: BF800000
	v_cndmask_b32_e32 v86, 0, v86, vcc                         // 000000012AA4: 00ACAC80
	v_add_u32_e32 v169, 3, v168                                // 000000012AA8: 69535083
	v_cmp_lt_u32_e32 vcc, v169, v221                           // 000000012AAC: 7D93BBA9
	s_nop 0                                                    // 000000012AB0: BF800000
	v_cndmask_b32_e32 v87, 0, v87, vcc                         // 000000012AB4: 00AEAE80
	v_add_u32_e32 v169, 64, v168                               // 000000012AB8: 695350C0
	v_cmp_lt_u32_e32 vcc, v169, v221                           // 000000012ABC: 7D93BBA9
	s_nop 0                                                    // 000000012AC0: BF800000
	v_cndmask_b32_e32 v88, 0, v88, vcc                         // 000000012AC4: 00B0B080
	v_add_u32_e32 v169, 0x41, v168                             // 000000012AC8: 695350FF 00000041
	v_cmp_lt_u32_e32 vcc, v169, v221                           // 000000012AD0: 7D93BBA9
	s_nop 0                                                    // 000000012AD4: BF800000
	v_cndmask_b32_e32 v89, 0, v89, vcc                         // 000000012AD8: 00B2B280
	v_add_u32_e32 v169, 0x42, v168                             // 000000012ADC: 695350FF 00000042
	v_cmp_lt_u32_e32 vcc, v169, v221                           // 000000012AE4: 7D93BBA9
	s_nop 0                                                    // 000000012AE8: BF800000
	v_cndmask_b32_e32 v90, 0, v90, vcc                         // 000000012AEC: 00B4B480
	v_add_u32_e32 v169, 0x43, v168                             // 000000012AF0: 695350FF 00000043
	v_cmp_lt_u32_e32 vcc, v169, v221                           // 000000012AF8: 7D93BBA9
	s_nop 0                                                    // 000000012AFC: BF800000
	v_cndmask_b32_e32 v91, 0, v91, vcc                         // 000000012B00: 00B6B680
	v_mov_b32_e32 v190, 0x358637bd                             // 000000012B04: 7F7C02FF 358637BD
	v_max3_f32 v190, |v84|, |v85|, v190                        // 000000012B0C: D1D303BE 06FAAB54
	v_max3_f32 v190, |v86|, |v87|, v190                        // 000000012B14: D1D303BE 06FAAF56
	v_max3_f32 v190, |v88|, |v89|, v190                        // 000000012B1C: D1D303BE 06FAB358
	v_max3_f32 v190, |v90|, |v91|, v190                        // 000000012B24: D1D303BE 06FAB75A
	v_mov_b32_e32 v189, 0x358637bd                             // 000000012B2C: 7F7A02FF 358637BD
	v_max3_f32 v189, |v68|, |v69|, v189                        // 000000012B34: D1D303BD 06F68B44
	v_max3_f32 v189, |v70|, |v71|, v189                        // 000000012B3C: D1D303BD 06F68F46
	v_max3_f32 v189, |v72|, |v73|, v189                        // 000000012B44: D1D303BD 06F69348
	v_max3_f32 v189, |v74|, |v75|, v189                        // 000000012B4C: D1D303BD 06F6974A
	v_max3_f32 v189, |v76|, |v77|, v189                        // 000000012B54: D1D303BD 06F69B4C
	v_max3_f32 v189, |v78|, |v79|, v189                        // 000000012B5C: D1D303BD 06F69F4E
	v_max3_f32 v189, |v80|, |v81|, v189                        // 000000012B64: D1D303BD 06F6A350
	v_max3_f32 v189, |v82|, |v83|, v189                        // 000000012B6C: D1D303BD 06F6A752
	v_mov_b32_e32 v188, 0x358637bd                             // 000000012B74: 7F7802FF 358637BD
	v_max3_f32 v188, |v52|, |v53|, v188                        // 000000012B7C: D1D303BC 06F26B34
	v_max3_f32 v188, |v54|, |v55|, v188                        // 000000012B84: D1D303BC 06F26F36
	v_max3_f32 v188, |v56|, |v57|, v188                        // 000000012B8C: D1D303BC 06F27338
	v_max3_f32 v188, |v58|, |v59|, v188                        // 000000012B94: D1D303BC 06F2773A
	v_max3_f32 v188, |v60|, |v61|, v188                        // 000000012B9C: D1D303BC 06F27B3C
	v_max3_f32 v188, |v62|, |v63|, v188                        // 000000012BA4: D1D303BC 06F27F3E
	v_max3_f32 v188, |v64|, |v65|, v188                        // 000000012BAC: D1D303BC 06F28340
	v_max3_f32 v188, |v66|, |v67|, v188                        // 000000012BB4: D1D303BC 06F28742
	v_max_f32_dpp v190, v190, v190 row_ror:8 row_mask:0xf bank_mask:0xf// 000000012BBC: 177D7CFA FF0128BE
	ds_bpermute_b32 v172, v212, v188                           // 000000012BC4: D87E0000 AC00BCD4
	ds_bpermute_b32 v173, v213, v188                           // 000000012BCC: D87E0000 AD00BCD5
	ds_bpermute_b32 v174, v214, v188                           // 000000012BD4: D87E0000 AE00BCD6
	ds_bpermute_b32 v175, v212, v189                           // 000000012BDC: D87E0000 AF00BDD4
	ds_bpermute_b32 v176, v213, v189                           // 000000012BE4: D87E0000 B000BDD5
	ds_bpermute_b32 v177, v214, v189                           // 000000012BEC: D87E0000 B100BDD6
	ds_bpermute_b32 v178, v212, v190                           // 000000012BF4: D87E0000 B200BED4
	ds_bpermute_b32 v179, v213, v190                           // 000000012BFC: D87E0000 B300BED5
	ds_bpermute_b32 v180, v214, v190                           // 000000012C04: D87E0000 B400BED6
	s_waitcnt lgkmcnt(6)                                       // 000000012C0C: BF8CC67F
	v_max3_f32 v188, v172, v173, v188                          // 000000012C10: D1D300BC 06F35BAC
	v_max_f32_e32 v188, v174, v188                             // 000000012C18: 177979AE
	s_waitcnt lgkmcnt(3)                                       // 000000012C1C: BF8CC37F
	v_max3_f32 v189, v175, v176, v189                          // 000000012C20: D1D300BD 06F761AF
	v_max_f32_e32 v189, v177, v189                             // 000000012C28: 177B7BB1
	s_waitcnt lgkmcnt(0)                                       // 000000012C2C: BF8CC07F
	v_max3_f32 v190, v178, v179, v190                          // 000000012C30: D1D300BE 06FB67B2
	v_max_f32_e32 v190, v180, v190                             // 000000012C38: 177D7DB4
	ds_write_b128 v252, v[188:191] offset:4096                 // 000000012C3C: D9BE1000 0000BCFC
	buffer_load_dword v154, v238, s[20:23], 0 offen            // 000000012C44: E0501000 80059AEE
	v_sub_f32_e32 v200, v194, v197                             // 000000012C4C: 05918BC2
	v_cmp_eq_u32_e64 s[98:99], v225, v194                      // 000000012C50: D0CA0062 000385E1
	v_cndmask_b32_e64 v200, v200, 0, s[98:99]                  // 000000012C58: D10000C8 018901C8
	v_mov_b32_e32 v194, v197                                   // 000000012C60: 7F8403C5
	v_mul_f32_e32 v200, s46, v200                              // 000000012C64: 0B91902E
	v_exp_f32_e32 v200, v200                                   // 000000012C68: 7F9041C8
	v_sub_f32_e32 v202, v195, v198                             // 000000012C6C: 05958DC3
	v_cmp_eq_u32_e64 s[98:99], v225, v195                      // 000000012C70: D0CA0062 000387E1
	v_cndmask_b32_e64 v202, v202, 0, s[98:99]                  // 000000012C78: D10000CA 018901CA
	v_mov_b32_e32 v195, v198                                   // 000000012C80: 7F8603C6
	v_mul_f32_e32 v202, s46, v202                              // 000000012C84: 0B95942E
	v_exp_f32_e32 v202, v202                                   // 000000012C88: 7F9441CA
	v_sub_f32_e32 v204, v196, v199                             // 000000012C8C: 05998FC4
	v_cmp_eq_u32_e64 s[98:99], v225, v196                      // 000000012C90: D0CA0062 000389E1
	v_cndmask_b32_e64 v204, v204, 0, s[98:99]                  // 000000012C98: D10000CC 018901CC
	v_mov_b32_e32 v196, v199                                   // 000000012CA0: 7F8803C7
	v_mul_f32_e32 v204, s46, v204                              // 000000012CA4: 0B99982E
	v_exp_f32_e32 v204, v204                                   // 000000012CA8: 7F9841CC
	v_mov_b32_e32 v201, v200                                   // 000000012CAC: 7F9203C8
	v_mov_b32_e32 v203, v202                                   // 000000012CB0: 7F9603CA
	v_mov_b32_e32 v205, v204                                   // 000000012CB4: 7F9A03CC
	s_waitcnt lgkmcnt(0)                                       // 000000012CB8: BF8CC07F
	s_barrier                                                  // 000000012CBC: BF8A0000
	ds_read_b128 v[172:175], v253 offset:4096                  // 000000012CC0: D9FE1000 AC0000FD
	ds_read_b128 v[176:179], v253 offset:4352                  // 000000012CC8: D9FE1100 B00000FD
	ds_read_b128 v[180:183], v253 offset:4608                  // 000000012CD0: D9FE1200 B40000FD
	ds_read_b128 v[184:187], v253 offset:4864                  // 000000012CD8: D9FE1300 B80000FD
	buffer_load_dword v156, v239, s[24:27], 0 offen            // 000000012CE0: E0501000 80069CEF
	v_mul_f32_e32 v206, v200, v206                             // 000000012CE8: 0B9D9DC8
	v_mov_b32_e32 v207, 0                                      // 000000012CEC: 7F9E0280
	v_pk_add_f32 v[206:207], v[4:5], v[206:207]                // 000000012CF0: D3B240CE 18039D04
	v_pk_add_f32 v[206:207], v[6:7], v[206:207]                // 000000012CF8: D3B240CE 18039D06
	v_pk_add_f32 v[206:207], v[8:9], v[206:207]                // 000000012D00: D3B240CE 18039D08
	v_pk_add_f32 v[206:207], v[10:11], v[206:207]              // 000000012D08: D3B240CE 18039D0A
	v_pk_add_f32 v[206:207], v[12:13], v[206:207]              // 000000012D10: D3B240CE 18039D0C
	v_pk_add_f32 v[206:207], v[14:15], v[206:207]              // 000000012D18: D3B240CE 18039D0E
	v_pk_add_f32 v[206:207], v[16:17], v[206:207]              // 000000012D20: D3B240CE 18039D10
	v_pk_add_f32 v[206:207], v[18:19], v[206:207]              // 000000012D28: D3B240CE 18039D12
	v_add_f32_e32 v206, v207, v206                             // 000000012D30: 039D9DCF
	v_mul_f32_e32 v208, v202, v208                             // 000000012D34: 0BA1A1CA
	v_mov_b32_e32 v209, 0                                      // 000000012D38: 7FA20280
	v_pk_add_f32 v[208:209], v[20:21], v[208:209]              // 000000012D3C: D3B240D0 1803A114
	v_pk_add_f32 v[208:209], v[22:23], v[208:209]              // 000000012D44: D3B240D0 1803A116
	v_pk_add_f32 v[208:209], v[24:25], v[208:209]              // 000000012D4C: D3B240D0 1803A118
	v_pk_add_f32 v[208:209], v[26:27], v[208:209]              // 000000012D54: D3B240D0 1803A11A
	v_pk_add_f32 v[208:209], v[28:29], v[208:209]              // 000000012D5C: D3B240D0 1803A11C
	v_pk_add_f32 v[208:209], v[30:31], v[208:209]              // 000000012D64: D3B240D0 1803A11E
	v_pk_add_f32 v[208:209], v[32:33], v[208:209]              // 000000012D6C: D3B240D0 1803A120
	v_pk_add_f32 v[208:209], v[34:35], v[208:209]              // 000000012D74: D3B240D0 1803A122
	v_add_f32_e32 v208, v209, v208                             // 000000012D7C: 03A1A1D1
	v_mul_f32_e32 v210, v204, v210                             // 000000012D80: 0BA5A5CC
	v_mov_b32_e32 v211, 0                                      // 000000012D84: 7FA60280
	v_pk_add_f32 v[210:211], v[36:37], v[210:211]              // 000000012D88: D3B240D2 1803A524
	v_pk_add_f32 v[210:211], v[38:39], v[210:211]              // 000000012D90: D3B240D2 1803A526
	v_pk_add_f32 v[210:211], v[40:41], v[210:211]              // 000000012D98: D3B240D2 1803A528
	v_pk_add_f32 v[210:211], v[42:43], v[210:211]              // 000000012DA0: D3B240D2 1803A52A
	v_add_f32_e32 v210, v211, v210                             // 000000012DA8: 03A5A5D3
	s_waitcnt lgkmcnt(0)                                       // 000000012DAC: BF8CC07F
	v_max3_f32 v188, v172, v176, v188                          // 000000012DB0: D1D300BC 06F361AC
	v_max3_f32 v189, v173, v177, v189                          // 000000012DB8: D1D300BD 06F763AD
	v_max3_f32 v190, v174, v178, v190                          // 000000012DC0: D1D300BE 06FB65AE
	v_max3_f32 v188, v180, v184, v188                          // 000000012DC8: D1D300BC 06F371B4
	v_max3_f32 v189, v181, v185, v189                          // 000000012DD0: D1D300BD 06F773B5
	v_max3_f32 v190, v182, v186, v190                          // 000000012DD8: D1D300BE 06FB75B6
	v_rcp_f32_e32 v188, v188                                   // 000000012DE0: 7F7845BC
	v_rcp_f32_e32 v189, v189                                   // 000000012DE4: 7F7A45BD
	v_rcp_f32_e32 v190, v190                                   // 000000012DE8: 7F7C45BE
	v_mul_f32_e32 v188, 0x43700000, v188                       // 000000012DEC: 0B7978FF 43700000
	v_mul_f32_e32 v189, 0x43700000, v189                       // 000000012DF4: 0B7B7AFF 43700000
	v_mul_f32_e32 v190, 0x43700000, v190                       // 000000012DFC: 0B7D7CFF 43700000
	v_mov_b32_e32 v192, v190                                   // 000000012E04: 7F8003BE
	v_mov_b32_e32 v193, v190                                   // 000000012E08: 7F8203BE
	v_mov_b32_e32 v190, v189                                   // 000000012E0C: 7F7C03BD
	v_mov_b32_e32 v191, v189                                   // 000000012E10: 7F7E03BD
	v_mov_b32_e32 v189, v188                                   // 000000012E14: 7F7A03BC
	v_pk_mul_f32 v[4:5], v[188:189], v[52:53]                  // 000000012E18: D3B14004 180269BC
	v_pk_mul_f32 v[6:7], v[188:189], v[54:55]                  // 000000012E20: D3B14006 18026DBC
	v_pk_mul_f32 v[8:9], v[188:189], v[56:57]                  // 000000012E28: D3B14008 180271BC
	v_pk_mul_f32 v[10:11], v[188:189], v[58:59]                // 000000012E30: D3B1400A 180275BC
	v_pk_mul_f32 v[12:13], v[188:189], v[60:61]                // 000000012E38: D3B1400C 180279BC
	v_pk_mul_f32 v[14:15], v[188:189], v[62:63]                // 000000012E40: D3B1400E 18027DBC
	v_pk_mul_f32 v[16:17], v[188:189], v[64:65]                // 000000012E48: D3B14010 180281BC
	v_pk_mul_f32 v[18:19], v[188:189], v[66:67]                // 000000012E50: D3B14012 180285BC
	v_pk_mul_f32 v[20:21], v[190:191], v[68:69]                // 000000012E58: D3B14014 180289BE
	v_pk_mul_f32 v[22:23], v[190:191], v[70:71]                // 000000012E60: D3B14016 18028DBE
	v_pk_mul_f32 v[24:25], v[190:191], v[72:73]                // 000000012E68: D3B14018 180291BE
	v_pk_mul_f32 v[26:27], v[190:191], v[74:75]                // 000000012E70: D3B1401A 180295BE
	v_pk_mul_f32 v[28:29], v[190:191], v[76:77]                // 000000012E78: D3B1401C 180299BE
	v_pk_mul_f32 v[30:31], v[190:191], v[78:79]                // 000000012E80: D3B1401E 18029DBE
	v_pk_mul_f32 v[32:33], v[190:191], v[80:81]                // 000000012E88: D3B14020 1802A1BE
	v_pk_mul_f32 v[34:35], v[190:191], v[82:83]                // 000000012E90: D3B14022 1802A5BE
	v_pk_mul_f32 v[36:37], v[192:193], v[84:85]                // 000000012E98: D3B14024 1802A9C0
	v_pk_mul_f32 v[38:39], v[192:193], v[86:87]                // 000000012EA0: D3B14026 1802ADC0
	v_pk_mul_f32 v[40:41], v[192:193], v[88:89]                // 000000012EA8: D3B14028 1802B1C0
	v_pk_mul_f32 v[42:43], v[192:193], v[90:91]                // 000000012EB0: D3B1402A 1802B5C0
	v_cvt_pk_fp8_f32 v4, v4, v5                                // 000000012EB8: D2A20004 00020B04
	v_cvt_pk_fp8_f32 v4, v6, v7 op_sel:[0,0,1]                 // 000000012EC0: D2A24004 00020F06
	v_cvt_pk_fp8_f32 v5, v8, v9                                // 000000012EC8: D2A20005 00021308
	v_cvt_pk_fp8_f32 v5, v10, v11 op_sel:[0,0,1]               // 000000012ED0: D2A24005 0002170A
	v_cvt_pk_fp8_f32 v6, v12, v13                              // 000000012ED8: D2A20006 00021B0C
	v_cvt_pk_fp8_f32 v6, v14, v15 op_sel:[0,0,1]               // 000000012EE0: D2A24006 00021F0E
	v_cvt_pk_fp8_f32 v7, v16, v17                              // 000000012EE8: D2A20007 00022310
	v_cvt_pk_fp8_f32 v7, v18, v19 op_sel:[0,0,1]               // 000000012EF0: D2A24007 00022712
	v_cvt_pk_fp8_f32 v8, v20, v21                              // 000000012EF8: D2A20008 00022B14
	v_cvt_pk_fp8_f32 v8, v22, v23 op_sel:[0,0,1]               // 000000012F00: D2A24008 00022F16
	v_cvt_pk_fp8_f32 v9, v24, v25                              // 000000012F08: D2A20009 00023318
	v_cvt_pk_fp8_f32 v9, v26, v27 op_sel:[0,0,1]               // 000000012F10: D2A24009 0002371A
	v_cvt_pk_fp8_f32 v10, v28, v29                             // 000000012F18: D2A2000A 00023B1C
	v_cvt_pk_fp8_f32 v10, v30, v31 op_sel:[0,0,1]              // 000000012F20: D2A2400A 00023F1E
	v_cvt_pk_fp8_f32 v11, v32, v33                             // 000000012F28: D2A2000B 00024320
	v_cvt_pk_fp8_f32 v11, v34, v35 op_sel:[0,0,1]              // 000000012F30: D2A2400B 00024722
	v_cvt_pk_fp8_f32 v12, v36, v37                             // 000000012F38: D2A2000C 00024B24
	v_cvt_pk_fp8_f32 v12, v38, v39 op_sel:[0,0,1]              // 000000012F40: D2A2400C 00024F26
	v_cvt_pk_fp8_f32 v13, v40, v41                             // 000000012F48: D2A2000D 00025328
	v_cvt_pk_fp8_f32 v13, v42, v43 op_sel:[0,0,1]              // 000000012F50: D2A2400D 0002572A
	v_mov_b32_dpp v14, v12 row_shl:8 row_mask:0xf bank_mask:0xf bound_ctrl:1// 000000012F58: 7E1C02FA FF09080C
	v_and_b32_e32 v12, v12, v224                               // 000000012F60: 2619C10C
	v_mov_b32_dpp v15, v13 row_shl:8 row_mask:0xf bank_mask:0xf bound_ctrl:1// 000000012F64: 7E1E02FA FF09080D
	v_and_b32_e32 v13, v13, v224                               // 000000012F6C: 261BC10D
	ds_write_b32 v254, v4 offset:8192                          // 000000012F70: D81A2000 000004FE
	ds_write_b32 v254, v5 offset:9216                          // 000000012F78: D81A2400 000005FE
	ds_write_b32 v254, v6 offset:10240                         // 000000012F80: D81A2800 000006FE
	ds_write_b32 v254, v7 offset:11264                         // 000000012F88: D81A2C00 000007FE
	ds_write_b32 v254, v8 offset:12288                         // 000000012F90: D81A3000 000008FE
	ds_write_b32 v254, v9 offset:13312                         // 000000012F98: D81A3400 000009FE
	ds_write_b32 v254, v10 offset:14336                        // 000000012FA0: D81A3800 00000AFE
	ds_write_b32 v254, v11 offset:15360                        // 000000012FA8: D81A3C00 00000BFE
	ds_write_b32 v254, v12 offset:16384                        // 000000012FB0: D81A4000 00000CFE
	ds_write_b32 v254, v13 offset:17408                        // 000000012FB8: D81A4400 00000DFE
	ds_write_b32 v254, v14 offset:18432                        // 000000012FC0: D81A4800 00000EFE
	ds_write_b32 v254, v15 offset:19456                        // 000000012FC8: D81A4C00 00000FFE
	v_rcp_f32_e32 v158, v188                                   // 000000012FD0: 7F3C45BC
	v_rcp_f32_e32 v160, v190                                   // 000000012FD4: 7F4045BE
	v_rcp_f32_e32 v162, v192                                   // 000000012FD8: 7F4445C0
	v_mov_b32_e32 v159, v158                                   // 000000012FDC: 7F3E039E
	v_mov_b32_e32 v161, v160                                   // 000000012FE0: 7F4203A0
	v_mov_b32_e32 v163, v162                                   // 000000012FE4: 7F4603A2
	v_pk_add_f32 v[124:125], v[124:125], v[100:101]            // 000000012FE8: D3B2407C 1802C97C
	v_pk_add_f32 v[126:127], v[126:127], v[102:103]            // 000000012FF0: D3B2407E 1802CD7E
	v_pk_add_f32 v[128:129], v[128:129], v[104:105]            // 000000012FF8: D3B24080 1802D180
	v_pk_add_f32 v[130:131], v[130:131], v[106:107]            // 000000013000: D3B24082 1802D582
	v_pk_add_f32 v[132:133], v[132:133], v[108:109]            // 000000013008: D3B24084 1802D984
	v_pk_add_f32 v[134:135], v[134:135], v[110:111]            // 000000013010: D3B24086 1802DD86
	v_pk_add_f32 v[136:137], v[136:137], v[112:113]            // 000000013018: D3B24088 1802E188
	v_pk_add_f32 v[138:139], v[138:139], v[114:115]            // 000000013020: D3B2408A 1802E58A
	v_pk_add_f32 v[140:141], v[140:141], v[116:117]            // 000000013028: D3B2408C 1802E98C
	v_pk_add_f32 v[142:143], v[142:143], v[118:119]            // 000000013030: D3B2408E 1802ED8E
	v_pk_add_f32 v[144:145], v[144:145], v[120:121]            // 000000013038: D3B24090 1802F190
	v_pk_add_f32 v[146:147], v[146:147], v[122:123]            // 000000013040: D3B24092 1802F592
	s_waitcnt lgkmcnt(0)                                       // 000000013048: BF8CC07F
	s_barrier                                                  // 00000001304C: BF8A0000
	ds_read_b128 v[4:7], v255 offset:8192                      // 000000013050: D9FE2000 040000FF
	ds_read_b128 v[8:11], v255 offset:9216                     // 000000013058: D9FE2400 080000FF
	ds_read_b128 v[12:15], v255 offset:10240                   // 000000013060: D9FE2800 0C0000FF
	ds_read_b128 v[16:19], v255 offset:11264                   // 000000013068: D9FE2C00 100000FF
	ds_read_b128 v[20:23], v255 offset:12288                   // 000000013070: D9FE3000 140000FF
	ds_read_b128 v[24:27], v255 offset:13312                   // 000000013078: D9FE3400 180000FF
	ds_read_b128 v[28:31], v255 offset:14336                   // 000000013080: D9FE3800 1C0000FF
	ds_read_b128 v[32:35], v255 offset:15360                   // 000000013088: D9FE3C00 200000FF
	ds_read_b128 v[36:39], v255 offset:16384                   // 000000013090: D9FE4000 240000FF
	ds_read_b128 v[40:43], v255 offset:17408                   // 000000013098: D9FE4400 280000FF
	ds_read_b128 v[44:47], v255 offset:18432                   // 0000000130A0: D9FE4800 2C0000FF
	ds_read_b128 v[48:51], v255 offset:19456                   // 0000000130A8: D9FE4C00 300000FF
	s_waitcnt vmcnt(10)                                        // 0000000130B0: BF8C0F7A
	v_lshrrev_b32_e32 v1, 4, v0                                // 0000000130B4: 20020084
	v_lshlrev_b32_e32 v1, 4, v1                                // 0000000130B8: 24020284
	v_add_u32_e32 v168, s64, v1                                // 0000000130BC: 69500240
	v_add_u32_e32 v168, 4, v168                                // 0000000130C0: 69515084
	v_sub_i32 v168, v168, s62                                  // 0000000130C4: D29D00A8 00007DA8
	s_mov_b32 s54, 0                                           // 0000000130CC: BEB60080
	v_add_i32 v169, s54, v168                                  // 0000000130D0: D29C00A9 00035036
	v_cmp_lt_i32_e64 vcc, v169, 4                              // 0000000130D8: D0C1006A 000109A9
	v_min_u32_e32 v169, 4, v169                                // 0000000130E0: 1D535284
	v_lshlrev_b32_e32 v169, 3, v169                            // 0000000130E4: 25535283
	v_lshrrev_b32_e64 v170, v169, -1                           // 0000000130E8: D11000AA 000183A9
	v_accvgpr_read_b32 v171, a120                              // 0000000130F0: D3D840AB 18000178
	v_cndmask_b32_e32 v171, 0, v171, vcc                       // 0000000130F8: 01575680
	v_and_b32_e32 v171, v171, v170                             // 0000000130FC: 275755AB
	v_accvgpr_write_b32 a120, v171                             // 000000013100: D3D94078 180001AB
	v_accvgpr_read_b32 v171, a136                              // 000000013108: D3D840AB 18000188
	v_cndmask_b32_e32 v171, 0, v171, vcc                       // 000000013110: 01575680
	v_and_b32_e32 v171, v171, v170                             // 000000013114: 275755AB
	v_accvgpr_write_b32 a136, v171                             // 000000013118: D3D94088 180001AB
	s_mov_b32 s54, 4                                           // 000000013120: BEB60084
	v_add_i32 v169, s54, v168                                  // 000000013124: D29C00A9 00035036
	v_cmp_lt_i32_e64 vcc, v169, 4                              // 00000001312C: D0C1006A 000109A9
	v_min_u32_e32 v169, 4, v169                                // 000000013134: 1D535284
	v_lshlrev_b32_e32 v169, 3, v169                            // 000000013138: 25535283
	v_lshrrev_b32_e64 v170, v169, -1                           // 00000001313C: D11000AA 000183A9
	v_accvgpr_read_b32 v171, a121                              // 000000013144: D3D840AB 18000179
	v_cndmask_b32_e32 v171, 0, v171, vcc                       // 00000001314C: 01575680
	v_and_b32_e32 v171, v171, v170                             // 000000013150: 275755AB
	v_accvgpr_write_b32 a121, v171                             // 000000013154: D3D94079 180001AB
	v_accvgpr_read_b32 v171, a137                              // 00000001315C: D3D840AB 18000189
	v_cndmask_b32_e32 v171, 0, v171, vcc                       // 000000013164: 01575680
	v_and_b32_e32 v171, v171, v170                             // 000000013168: 275755AB
	v_accvgpr_write_b32 a137, v171                             // 00000001316C: D3D94089 180001AB
	s_mov_b32 s54, 8                                           // 000000013174: BEB60088
	v_add_i32 v169, s54, v168                                  // 000000013178: D29C00A9 00035036
	v_cmp_lt_i32_e64 vcc, v169, 4                              // 000000013180: D0C1006A 000109A9
	v_min_u32_e32 v169, 4, v169                                // 000000013188: 1D535284
	v_lshlrev_b32_e32 v169, 3, v169                            // 00000001318C: 25535283
	v_lshrrev_b32_e64 v170, v169, -1                           // 000000013190: D11000AA 000183A9
	v_accvgpr_read_b32 v171, a122                              // 000000013198: D3D840AB 1800017A
	v_cndmask_b32_e32 v171, 0, v171, vcc                       // 0000000131A0: 01575680
	v_and_b32_e32 v171, v171, v170                             // 0000000131A4: 275755AB
	v_accvgpr_write_b32 a122, v171                             // 0000000131A8: D3D9407A 180001AB
	v_accvgpr_read_b32 v171, a138                              // 0000000131B0: D3D840AB 1800018A
	v_cndmask_b32_e32 v171, 0, v171, vcc                       // 0000000131B8: 01575680
	v_and_b32_e32 v171, v171, v170                             // 0000000131BC: 275755AB
	v_accvgpr_write_b32 a138, v171                             // 0000000131C0: D3D9408A 180001AB
	s_mov_b32 s54, 12                                          // 0000000131C8: BEB6008C
	v_add_i32 v169, s54, v168                                  // 0000000131CC: D29C00A9 00035036
	v_cmp_lt_i32_e64 vcc, v169, 4                              // 0000000131D4: D0C1006A 000109A9
	v_min_u32_e32 v169, 4, v169                                // 0000000131DC: 1D535284
	v_lshlrev_b32_e32 v169, 3, v169                            // 0000000131E0: 25535283
	v_lshrrev_b32_e64 v170, v169, -1                           // 0000000131E4: D11000AA 000183A9
	v_accvgpr_read_b32 v171, a123                              // 0000000131EC: D3D840AB 1800017B
	v_cndmask_b32_e32 v171, 0, v171, vcc                       // 0000000131F4: 01575680
	v_and_b32_e32 v171, v171, v170                             // 0000000131F8: 275755AB
	v_accvgpr_write_b32 a123, v171                             // 0000000131FC: D3D9407B 180001AB
	v_accvgpr_read_b32 v171, a139                              // 000000013204: D3D840AB 1800018B
	v_cndmask_b32_e32 v171, 0, v171, vcc                       // 00000001320C: 01575680
	v_and_b32_e32 v171, v171, v170                             // 000000013210: 275755AB
	v_accvgpr_write_b32 a139, v171                             // 000000013214: D3D9408B 180001AB
	s_mov_b32 s54, 64                                          // 00000001321C: BEB600C0
	v_add_i32 v169, s54, v168                                  // 000000013220: D29C00A9 00035036
	v_cmp_lt_i32_e64 vcc, v169, 4                              // 000000013228: D0C1006A 000109A9
	v_min_u32_e32 v169, 4, v169                                // 000000013230: 1D535284
	v_lshlrev_b32_e32 v169, 3, v169                            // 000000013234: 25535283
	v_lshrrev_b32_e64 v170, v169, -1                           // 000000013238: D11000AA 000183A9
	v_accvgpr_read_b32 v171, a124                              // 000000013240: D3D840AB 1800017C
	v_cndmask_b32_e32 v171, 0, v171, vcc                       // 000000013248: 01575680
	v_and_b32_e32 v171, v171, v170                             // 00000001324C: 275755AB
	v_accvgpr_write_b32 a124, v171                             // 000000013250: D3D9407C 180001AB
	v_accvgpr_read_b32 v171, a140                              // 000000013258: D3D840AB 1800018C
	v_cndmask_b32_e32 v171, 0, v171, vcc                       // 000000013260: 01575680
	v_and_b32_e32 v171, v171, v170                             // 000000013264: 275755AB
	v_accvgpr_write_b32 a140, v171                             // 000000013268: D3D9408C 180001AB
	s_mov_b32 s54, 0x44                                        // 000000013270: BEB600FF 00000044
	v_add_i32 v169, s54, v168                                  // 000000013278: D29C00A9 00035036
	v_cmp_lt_i32_e64 vcc, v169, 4                              // 000000013280: D0C1006A 000109A9
	v_min_u32_e32 v169, 4, v169                                // 000000013288: 1D535284
	v_lshlrev_b32_e32 v169, 3, v169                            // 00000001328C: 25535283
	v_lshrrev_b32_e64 v170, v169, -1                           // 000000013290: D11000AA 000183A9
	v_accvgpr_read_b32 v171, a125                              // 000000013298: D3D840AB 1800017D
	v_cndmask_b32_e32 v171, 0, v171, vcc                       // 0000000132A0: 01575680
	v_and_b32_e32 v171, v171, v170                             // 0000000132A4: 275755AB
	v_accvgpr_write_b32 a125, v171                             // 0000000132A8: D3D9407D 180001AB
	v_accvgpr_read_b32 v171, a141                              // 0000000132B0: D3D840AB 1800018D
	v_cndmask_b32_e32 v171, 0, v171, vcc                       // 0000000132B8: 01575680
	v_and_b32_e32 v171, v171, v170                             // 0000000132BC: 275755AB
	v_accvgpr_write_b32 a141, v171                             // 0000000132C0: D3D9408D 180001AB
	s_mov_b32 s54, 0x48                                        // 0000000132C8: BEB600FF 00000048
	v_add_i32 v169, s54, v168                                  // 0000000132D0: D29C00A9 00035036
	v_cmp_lt_i32_e64 vcc, v169, 4                              // 0000000132D8: D0C1006A 000109A9
	v_min_u32_e32 v169, 4, v169                                // 0000000132E0: 1D535284
	v_lshlrev_b32_e32 v169, 3, v169                            // 0000000132E4: 25535283
	v_lshrrev_b32_e64 v170, v169, -1                           // 0000000132E8: D11000AA 000183A9
	v_accvgpr_read_b32 v171, a126                              // 0000000132F0: D3D840AB 1800017E
	v_cndmask_b32_e32 v171, 0, v171, vcc                       // 0000000132F8: 01575680
	v_and_b32_e32 v171, v171, v170                             // 0000000132FC: 275755AB
	v_accvgpr_write_b32 a126, v171                             // 000000013300: D3D9407E 180001AB
	v_accvgpr_read_b32 v171, a142                              // 000000013308: D3D840AB 1800018E
	v_cndmask_b32_e32 v171, 0, v171, vcc                       // 000000013310: 01575680
	v_and_b32_e32 v171, v171, v170                             // 000000013314: 275755AB
	v_accvgpr_write_b32 a142, v171                             // 000000013318: D3D9408E 180001AB
	s_mov_b32 s54, 0x4c                                        // 000000013320: BEB600FF 0000004C
	v_add_i32 v169, s54, v168                                  // 000000013328: D29C00A9 00035036
	v_cmp_lt_i32_e64 vcc, v169, 4                              // 000000013330: D0C1006A 000109A9
	v_min_u32_e32 v169, 4, v169                                // 000000013338: 1D535284
	v_lshlrev_b32_e32 v169, 3, v169                            // 00000001333C: 25535283
	v_lshrrev_b32_e64 v170, v169, -1                           // 000000013340: D11000AA 000183A9
	v_accvgpr_read_b32 v171, a127                              // 000000013348: D3D840AB 1800017F
	v_cndmask_b32_e32 v171, 0, v171, vcc                       // 000000013350: 01575680
	v_and_b32_e32 v171, v171, v170                             // 000000013354: 275755AB
	v_accvgpr_write_b32 a127, v171                             // 000000013358: D3D9407F 180001AB
	v_accvgpr_read_b32 v171, a143                              // 000000013360: D3D840AB 1800018F
	v_cndmask_b32_e32 v171, 0, v171, vcc                       // 000000013368: 01575680
	v_and_b32_e32 v171, v171, v170                             // 00000001336C: 275755AB
	v_accvgpr_write_b32 a143, v171                             // 000000013370: D3D9408F 180001AB
	s_mov_b32 s54, 0x80                                        // 000000013378: BEB600FF 00000080
	v_add_i32 v169, s54, v168                                  // 000000013380: D29C00A9 00035036
	v_cmp_lt_i32_e64 vcc, v169, 4                              // 000000013388: D0C1006A 000109A9
	v_min_u32_e32 v169, 4, v169                                // 000000013390: 1D535284
	v_lshlrev_b32_e32 v169, 3, v169                            // 000000013394: 25535283
	v_lshrrev_b32_e64 v170, v169, -1                           // 000000013398: D11000AA 000183A9
	v_accvgpr_read_b32 v171, a128                              // 0000000133A0: D3D840AB 18000180
	v_cndmask_b32_e32 v171, 0, v171, vcc                       // 0000000133A8: 01575680
	v_and_b32_e32 v171, v171, v170                             // 0000000133AC: 275755AB
	v_accvgpr_write_b32 a128, v171                             // 0000000133B0: D3D94080 180001AB
	v_accvgpr_read_b32 v171, a144                              // 0000000133B8: D3D840AB 18000190
	v_cndmask_b32_e32 v171, 0, v171, vcc                       // 0000000133C0: 01575680
	v_and_b32_e32 v171, v171, v170                             // 0000000133C4: 275755AB
	v_accvgpr_write_b32 a144, v171                             // 0000000133C8: D3D94090 180001AB
	s_mov_b32 s54, 0x84                                        // 0000000133D0: BEB600FF 00000084
	v_add_i32 v169, s54, v168                                  // 0000000133D8: D29C00A9 00035036
	v_cmp_lt_i32_e64 vcc, v169, 4                              // 0000000133E0: D0C1006A 000109A9
	v_min_u32_e32 v169, 4, v169                                // 0000000133E8: 1D535284
	v_lshlrev_b32_e32 v169, 3, v169                            // 0000000133EC: 25535283
	v_lshrrev_b32_e64 v170, v169, -1                           // 0000000133F0: D11000AA 000183A9
	v_accvgpr_read_b32 v171, a129                              // 0000000133F8: D3D840AB 18000181
	v_cndmask_b32_e32 v171, 0, v171, vcc                       // 000000013400: 01575680
	v_and_b32_e32 v171, v171, v170                             // 000000013404: 275755AB
	v_accvgpr_write_b32 a129, v171                             // 000000013408: D3D94081 180001AB
	v_accvgpr_read_b32 v171, a145                              // 000000013410: D3D840AB 18000191
	v_cndmask_b32_e32 v171, 0, v171, vcc                       // 000000013418: 01575680
	v_and_b32_e32 v171, v171, v170                             // 00000001341C: 275755AB
	v_accvgpr_write_b32 a145, v171                             // 000000013420: D3D94091 180001AB
	s_mov_b32 s54, 0x88                                        // 000000013428: BEB600FF 00000088
	v_add_i32 v169, s54, v168                                  // 000000013430: D29C00A9 00035036
	v_cmp_lt_i32_e64 vcc, v169, 4                              // 000000013438: D0C1006A 000109A9
	v_min_u32_e32 v169, 4, v169                                // 000000013440: 1D535284
	v_lshlrev_b32_e32 v169, 3, v169                            // 000000013444: 25535283
	v_lshrrev_b32_e64 v170, v169, -1                           // 000000013448: D11000AA 000183A9
	v_accvgpr_read_b32 v171, a130                              // 000000013450: D3D840AB 18000182
	v_cndmask_b32_e32 v171, 0, v171, vcc                       // 000000013458: 01575680
	v_and_b32_e32 v171, v171, v170                             // 00000001345C: 275755AB
	v_accvgpr_write_b32 a130, v171                             // 000000013460: D3D94082 180001AB
	v_accvgpr_read_b32 v171, a146                              // 000000013468: D3D840AB 18000192
	v_cndmask_b32_e32 v171, 0, v171, vcc                       // 000000013470: 01575680
	v_and_b32_e32 v171, v171, v170                             // 000000013474: 275755AB
	v_accvgpr_write_b32 a146, v171                             // 000000013478: D3D94092 180001AB
	s_mov_b32 s54, 0x8c                                        // 000000013480: BEB600FF 0000008C
	v_add_i32 v169, s54, v168                                  // 000000013488: D29C00A9 00035036
	v_cmp_lt_i32_e64 vcc, v169, 4                              // 000000013490: D0C1006A 000109A9
	v_min_u32_e32 v169, 4, v169                                // 000000013498: 1D535284
	v_lshlrev_b32_e32 v169, 3, v169                            // 00000001349C: 25535283
	v_lshrrev_b32_e64 v170, v169, -1                           // 0000000134A0: D11000AA 000183A9
	v_accvgpr_read_b32 v171, a131                              // 0000000134A8: D3D840AB 18000183
	v_cndmask_b32_e32 v171, 0, v171, vcc                       // 0000000134B0: 01575680
	v_and_b32_e32 v171, v171, v170                             // 0000000134B4: 275755AB
	v_accvgpr_write_b32 a131, v171                             // 0000000134B8: D3D94083 180001AB
	v_accvgpr_read_b32 v171, a147                              // 0000000134C0: D3D840AB 18000193
	v_cndmask_b32_e32 v171, 0, v171, vcc                       // 0000000134C8: 01575680
	v_and_b32_e32 v171, v171, v170                             // 0000000134CC: 275755AB
	v_accvgpr_write_b32 a147, v171                             // 0000000134D0: D3D94093 180001AB
	s_mov_b32 s54, 0xc0                                        // 0000000134D8: BEB600FF 000000C0
	v_add_i32 v169, s54, v168                                  // 0000000134E0: D29C00A9 00035036
	v_cmp_lt_i32_e64 vcc, v169, 4                              // 0000000134E8: D0C1006A 000109A9
	v_min_u32_e32 v169, 4, v169                                // 0000000134F0: 1D535284
	v_lshlrev_b32_e32 v169, 3, v169                            // 0000000134F4: 25535283
	v_lshrrev_b32_e64 v170, v169, -1                           // 0000000134F8: D11000AA 000183A9
	v_accvgpr_read_b32 v171, a132                              // 000000013500: D3D840AB 18000184
	v_cndmask_b32_e32 v171, 0, v171, vcc                       // 000000013508: 01575680
	v_and_b32_e32 v171, v171, v170                             // 00000001350C: 275755AB
	v_accvgpr_write_b32 a132, v171                             // 000000013510: D3D94084 180001AB
	v_accvgpr_read_b32 v171, a148                              // 000000013518: D3D840AB 18000194
	v_cndmask_b32_e32 v171, 0, v171, vcc                       // 000000013520: 01575680
	v_and_b32_e32 v171, v171, v170                             // 000000013524: 275755AB
	v_accvgpr_write_b32 a148, v171                             // 000000013528: D3D94094 180001AB
	s_mov_b32 s54, 0xc4                                        // 000000013530: BEB600FF 000000C4
	v_add_i32 v169, s54, v168                                  // 000000013538: D29C00A9 00035036
	v_cmp_lt_i32_e64 vcc, v169, 4                              // 000000013540: D0C1006A 000109A9
	v_min_u32_e32 v169, 4, v169                                // 000000013548: 1D535284
	v_lshlrev_b32_e32 v169, 3, v169                            // 00000001354C: 25535283
	v_lshrrev_b32_e64 v170, v169, -1                           // 000000013550: D11000AA 000183A9
	v_accvgpr_read_b32 v171, a133                              // 000000013558: D3D840AB 18000185
	v_cndmask_b32_e32 v171, 0, v171, vcc                       // 000000013560: 01575680
	v_and_b32_e32 v171, v171, v170                             // 000000013564: 275755AB
	v_accvgpr_write_b32 a133, v171                             // 000000013568: D3D94085 180001AB
	v_accvgpr_read_b32 v171, a149                              // 000000013570: D3D840AB 18000195
	v_cndmask_b32_e32 v171, 0, v171, vcc                       // 000000013578: 01575680
	v_and_b32_e32 v171, v171, v170                             // 00000001357C: 275755AB
	v_accvgpr_write_b32 a149, v171                             // 000000013580: D3D94095 180001AB
	s_mov_b32 s54, 0xc8                                        // 000000013588: BEB600FF 000000C8
	v_add_i32 v169, s54, v168                                  // 000000013590: D29C00A9 00035036
	v_cmp_lt_i32_e64 vcc, v169, 4                              // 000000013598: D0C1006A 000109A9
	v_min_u32_e32 v169, 4, v169                                // 0000000135A0: 1D535284
	v_lshlrev_b32_e32 v169, 3, v169                            // 0000000135A4: 25535283
	v_lshrrev_b32_e64 v170, v169, -1                           // 0000000135A8: D11000AA 000183A9
	v_accvgpr_read_b32 v171, a134                              // 0000000135B0: D3D840AB 18000186
	v_cndmask_b32_e32 v171, 0, v171, vcc                       // 0000000135B8: 01575680
	v_and_b32_e32 v171, v171, v170                             // 0000000135BC: 275755AB
	v_accvgpr_write_b32 a134, v171                             // 0000000135C0: D3D94086 180001AB
	v_accvgpr_read_b32 v171, a150                              // 0000000135C8: D3D840AB 18000196
	v_cndmask_b32_e32 v171, 0, v171, vcc                       // 0000000135D0: 01575680
	v_and_b32_e32 v171, v171, v170                             // 0000000135D4: 275755AB
	v_accvgpr_write_b32 a150, v171                             // 0000000135D8: D3D94096 180001AB
	s_mov_b32 s54, 0xcc                                        // 0000000135E0: BEB600FF 000000CC
	v_add_i32 v169, s54, v168                                  // 0000000135E8: D29C00A9 00035036
	v_cmp_lt_i32_e64 vcc, v169, 4                              // 0000000135F0: D0C1006A 000109A9
	v_min_u32_e32 v169, 4, v169                                // 0000000135F8: 1D535284
	v_lshlrev_b32_e32 v169, 3, v169                            // 0000000135FC: 25535283
	v_lshrrev_b32_e64 v170, v169, -1                           // 000000013600: D11000AA 000183A9
	v_accvgpr_read_b32 v171, a135                              // 000000013608: D3D840AB 18000187
	v_cndmask_b32_e32 v171, 0, v171, vcc                       // 000000013610: 01575680
	v_and_b32_e32 v171, v171, v170                             // 000000013614: 275755AB
	v_accvgpr_write_b32 a135, v171                             // 000000013618: D3D94087 180001AB
	v_accvgpr_read_b32 v171, a151                              // 000000013620: D3D840AB 18000197
	v_cndmask_b32_e32 v171, 0, v171, vcc                       // 000000013628: 01575680
	v_and_b32_e32 v171, v171, v170                             // 00000001362C: 275755AB
	v_accvgpr_write_b32 a151, v171                             // 000000013630: D3D94097 180001AB
	s_waitcnt lgkmcnt(11)                                      // 000000013638: BF8CCB7F
	v_mfma_f32_16x16x32_fp8_fp8 v[100:103], a[120:121], v[4:5], 0// 00000001363C: D3F30064 0A020978
	v_mfma_f32_16x16x32_fp8_fp8 v[104:107], a[136:137], v[4:5], 0// 000000013644: D3F30068 0A020988
	v_mfma_f32_16x16x32_fp8_fp8 v[100:103], a[122:123], v[6:7], v[100:103]// 00000001364C: D3F30064 0D920D7A
	buffer_load_dwordx4 a[88:91], v234, s[16:19], 0 offen      // 000000013654: E05C1000 808458EA
	v_mfma_f32_16x16x32_fp8_fp8 v[104:107], a[138:139], v[6:7], v[104:107]// 00000001365C: D3F30068 0DA20D8A
	s_waitcnt lgkmcnt(10)                                      // 000000013664: BF8CCA7F
	v_mfma_f32_16x16x32_fp8_fp8 v[100:103], a[124:125], v[8:9], v[100:103]// 000000013668: D3F30064 0D92117C
	v_mfma_f32_16x16x32_fp8_fp8 v[104:107], a[140:141], v[8:9], v[104:107]// 000000013670: D3F30068 0DA2118C
	v_mfma_f32_16x16x32_fp8_fp8 v[100:103], a[126:127], v[10:11], v[100:103]// 000000013678: D3F30064 0D92157E
	buffer_load_dwordx4 a[92:95], v235, s[16:19], 0 offen      // 000000013680: E05C1000 80845CEB
	v_mfma_f32_16x16x32_fp8_fp8 v[104:107], a[142:143], v[10:11], v[104:107]// 000000013688: D3F30068 0DA2158E
	s_waitcnt lgkmcnt(9)                                       // 000000013690: BF8CC97F
	v_mfma_f32_16x16x32_fp8_fp8 v[100:103], a[128:129], v[12:13], v[100:103]// 000000013694: D3F30064 0D921980
	v_mfma_f32_16x16x32_fp8_fp8 v[104:107], a[144:145], v[12:13], v[104:107]// 00000001369C: D3F30068 0DA21990
	v_mfma_f32_16x16x32_fp8_fp8 v[100:103], a[130:131], v[14:15], v[100:103]// 0000000136A4: D3F30064 0D921D82
	buffer_load_dwordx4 a[96:99], v236, s[16:19], 0 offen      // 0000000136AC: E05C1000 808460EC
	v_mfma_f32_16x16x32_fp8_fp8 v[104:107], a[146:147], v[14:15], v[104:107]// 0000000136B4: D3F30068 0DA21D92
	s_waitcnt lgkmcnt(8)                                       // 0000000136BC: BF8CC87F
	v_mfma_f32_16x16x32_fp8_fp8 v[100:103], a[132:133], v[16:17], v[100:103]// 0000000136C0: D3F30064 0D922184
	v_mfma_f32_16x16x32_fp8_fp8 v[104:107], a[148:149], v[16:17], v[104:107]// 0000000136C8: D3F30068 0DA22194
	v_mfma_f32_16x16x32_fp8_fp8 v[100:103], a[134:135], v[18:19], v[100:103]// 0000000136D0: D3F30064 0D922586
	buffer_load_dwordx4 a[100:103], v237, s[16:19], 0 offen    // 0000000136D8: E05C1000 808464ED
	v_mfma_f32_16x16x32_fp8_fp8 v[104:107], a[150:151], v[18:19], v[104:107]// 0000000136E0: D3F30068 0DA22596
	s_waitcnt lgkmcnt(7)                                       // 0000000136E8: BF8CC77F
	v_mfma_f32_16x16x32_fp8_fp8 v[108:111], a[120:121], v[20:21], 0// 0000000136EC: D3F3006C 0A022978
	v_mfma_f32_16x16x32_fp8_fp8 v[112:115], a[136:137], v[20:21], 0// 0000000136F4: D3F30070 0A022988
	v_mfma_f32_16x16x32_fp8_fp8 v[108:111], a[122:123], v[22:23], v[108:111]// 0000000136FC: D3F3006C 0DB22D7A
	buffer_load_dwordx4 a[104:107], v234, s[16:19], 0 offen offset:1024// 000000013704: E05C1400 808468EA
	v_mfma_f32_16x16x32_fp8_fp8 v[112:115], a[138:139], v[22:23], v[112:115]// 00000001370C: D3F30070 0DC22D8A
	s_waitcnt lgkmcnt(6)                                       // 000000013714: BF8CC67F
	v_mfma_f32_16x16x32_fp8_fp8 v[108:111], a[124:125], v[24:25], v[108:111]// 000000013718: D3F3006C 0DB2317C
	v_mfma_f32_16x16x32_fp8_fp8 v[112:115], a[140:141], v[24:25], v[112:115]// 000000013720: D3F30070 0DC2318C
	v_mfma_f32_16x16x32_fp8_fp8 v[108:111], a[126:127], v[26:27], v[108:111]// 000000013728: D3F3006C 0DB2357E
	buffer_load_dwordx4 a[108:111], v235, s[16:19], 0 offen offset:1024// 000000013730: E05C1400 80846CEB
	v_mfma_f32_16x16x32_fp8_fp8 v[112:115], a[142:143], v[26:27], v[112:115]// 000000013738: D3F30070 0DC2358E
	s_waitcnt lgkmcnt(5)                                       // 000000013740: BF8CC57F
	v_mfma_f32_16x16x32_fp8_fp8 v[108:111], a[128:129], v[28:29], v[108:111]// 000000013744: D3F3006C 0DB23980
	v_mfma_f32_16x16x32_fp8_fp8 v[112:115], a[144:145], v[28:29], v[112:115]// 00000001374C: D3F30070 0DC23990
	v_mfma_f32_16x16x32_fp8_fp8 v[108:111], a[130:131], v[30:31], v[108:111]// 000000013754: D3F3006C 0DB23D82
	buffer_load_dwordx4 a[112:115], v236, s[16:19], 0 offen offset:1024// 00000001375C: E05C1400 808470EC
	v_mfma_f32_16x16x32_fp8_fp8 v[112:115], a[146:147], v[30:31], v[112:115]// 000000013764: D3F30070 0DC23D92
	s_waitcnt lgkmcnt(4)                                       // 00000001376C: BF8CC47F
	v_mfma_f32_16x16x32_fp8_fp8 v[108:111], a[132:133], v[32:33], v[108:111]// 000000013770: D3F3006C 0DB24184
	v_mfma_f32_16x16x32_fp8_fp8 v[112:115], a[148:149], v[32:33], v[112:115]// 000000013778: D3F30070 0DC24194
	v_mfma_f32_16x16x32_fp8_fp8 v[108:111], a[134:135], v[34:35], v[108:111]// 000000013780: D3F3006C 0DB24586
	buffer_load_dwordx4 a[116:119], v237, s[16:19], 0 offen offset:1024// 000000013788: E05C1400 808474ED
	v_mfma_f32_16x16x32_fp8_fp8 v[112:115], a[150:151], v[34:35], v[112:115]// 000000013790: D3F30070 0DC24596
	s_waitcnt lgkmcnt(3)                                       // 000000013798: BF8CC37F
	v_mfma_f32_16x16x32_fp8_fp8 v[116:119], a[120:121], v[36:37], 0// 00000001379C: D3F30074 0A024978
	v_mfma_f32_16x16x32_fp8_fp8 v[120:123], a[136:137], v[36:37], 0// 0000000137A4: D3F30078 0A024988
	v_mfma_f32_16x16x32_fp8_fp8 v[116:119], a[122:123], v[38:39], v[116:119]// 0000000137AC: D3F30074 0DD24D7A
	v_mfma_f32_16x16x32_fp8_fp8 v[120:123], a[138:139], v[38:39], v[120:123]// 0000000137B4: D3F30078 0DE24D8A
	s_waitcnt lgkmcnt(2)                                       // 0000000137BC: BF8CC27F
	v_mfma_f32_16x16x32_fp8_fp8 v[116:119], a[124:125], v[40:41], v[116:119]// 0000000137C0: D3F30074 0DD2517C
	v_mfma_f32_16x16x32_fp8_fp8 v[120:123], a[140:141], v[40:41], v[120:123]// 0000000137C8: D3F30078 0DE2518C
	v_mfma_f32_16x16x32_fp8_fp8 v[116:119], a[126:127], v[42:43], v[116:119]// 0000000137D0: D3F30074 0DD2557E
	v_mfma_f32_16x16x32_fp8_fp8 v[120:123], a[142:143], v[42:43], v[120:123]// 0000000137D8: D3F30078 0DE2558E
	s_waitcnt lgkmcnt(1)                                       // 0000000137E0: BF8CC17F
	v_mfma_f32_16x16x32_fp8_fp8 v[116:119], a[128:129], v[44:45], v[116:119]// 0000000137E4: D3F30074 0DD25980
	v_mfma_f32_16x16x32_fp8_fp8 v[120:123], a[144:145], v[44:45], v[120:123]// 0000000137EC: D3F30078 0DE25990
	v_mfma_f32_16x16x32_fp8_fp8 v[116:119], a[130:131], v[46:47], v[116:119]// 0000000137F4: D3F30074 0DD25D82
	v_mfma_f32_16x16x32_fp8_fp8 v[120:123], a[146:147], v[46:47], v[120:123]// 0000000137FC: D3F30078 0DE25D92
	s_waitcnt lgkmcnt(0)                                       // 000000013804: BF8CC07F
	v_mfma_f32_16x16x32_fp8_fp8 v[116:119], a[132:133], v[48:49], v[116:119]// 000000013808: D3F30074 0DD26184
	v_mfma_f32_16x16x32_fp8_fp8 v[120:123], a[148:149], v[48:49], v[120:123]// 000000013810: D3F30078 0DE26194
	v_mfma_f32_16x16x32_fp8_fp8 v[116:119], a[134:135], v[50:51], v[116:119]// 000000013818: D3F30074 0DD26586
	v_mfma_f32_16x16x32_fp8_fp8 v[120:123], a[150:151], v[50:51], v[120:123]// 000000013820: D3F30078 0DE26596
	s_addk_i32 s64, 0x100                                      // 000000013828: B7400100
	s_branch label_265C                                        // 00000001382C: BF82E250

0000000000013830 <label_440C>:
	v_pk_mul_f32 v[124:125], v[200:201], v[124:125]            // 000000013830: D3B1407C 1802F9C8
	v_pk_mul_f32 v[126:127], v[200:201], v[126:127]            // 000000013838: D3B1407E 1802FDC8
	v_pk_mul_f32 v[128:129], v[200:201], v[128:129]            // 000000013840: D3B14080 180301C8
	v_pk_mul_f32 v[130:131], v[200:201], v[130:131]            // 000000013848: D3B14082 180305C8
	v_pk_mul_f32 v[132:133], v[202:203], v[132:133]            // 000000013850: D3B14084 180309CA
	v_pk_mul_f32 v[134:135], v[202:203], v[134:135]            // 000000013858: D3B14086 18030DCA
	v_pk_mul_f32 v[136:137], v[202:203], v[136:137]            // 000000013860: D3B14088 180311CA
	v_pk_mul_f32 v[138:139], v[202:203], v[138:139]            // 000000013868: D3B1408A 180315CA
	v_pk_mul_f32 v[140:141], v[204:205], v[140:141]            // 000000013870: D3B1408C 180319CC
	v_pk_mul_f32 v[142:143], v[204:205], v[142:143]            // 000000013878: D3B1408E 18031DCC
	v_pk_mul_f32 v[144:145], v[204:205], v[144:145]            // 000000013880: D3B14090 180321CC
	v_pk_mul_f32 v[146:147], v[204:205], v[146:147]            // 000000013888: D3B14092 180325CC
	v_add_f32_dpp v210, v210, v210 row_ror:8 row_mask:0xf bank_mask:0xf// 000000013890: 03A5A4FA FF0128D2
	ds_bpermute_b32 v172, v212, v206                           // 000000013898: D87E0000 AC00CED4
	ds_bpermute_b32 v173, v213, v206                           // 0000000138A0: D87E0000 AD00CED5
	ds_bpermute_b32 v174, v214, v206                           // 0000000138A8: D87E0000 AE00CED6
	ds_bpermute_b32 v175, v212, v208                           // 0000000138B0: D87E0000 AF00D0D4
	ds_bpermute_b32 v176, v213, v208                           // 0000000138B8: D87E0000 B000D0D5
	ds_bpermute_b32 v177, v214, v208                           // 0000000138C0: D87E0000 B100D0D6
	ds_bpermute_b32 v178, v212, v210                           // 0000000138C8: D87E0000 B200D2D4
	ds_bpermute_b32 v179, v213, v210                           // 0000000138D0: D87E0000 B300D2D5
	ds_bpermute_b32 v180, v214, v210                           // 0000000138D8: D87E0000 B400D2D6
	s_waitcnt lgkmcnt(0)                                       // 0000000138E0: BF8CC07F
	v_add_f32_e32 v206, v172, v206                             // 0000000138E4: 039D9DAC
	v_add_f32_e32 v206, v173, v206                             // 0000000138E8: 039D9DAD
	v_add_f32_e32 v206, v174, v206                             // 0000000138EC: 039D9DAE
	v_add_f32_e32 v207, v175, v208                             // 0000000138F0: 039FA1AF
	v_add_f32_e32 v207, v176, v207                             // 0000000138F4: 039F9FB0
	v_add_f32_e32 v207, v177, v207                             // 0000000138F8: 039F9FB1
	v_add_f32_e32 v208, v178, v210                             // 0000000138FC: 03A1A5B2
	v_add_f32_e32 v208, v179, v208                             // 000000013900: 03A1A1B3
	v_add_f32_e32 v208, v180, v208                             // 000000013904: 03A1A1B4
	ds_write_b128 v252, v[206:209]                             // 000000013908: D9BE0000 0000CEFC
	v_pk_mul_f32 v[100:101], v[158:159], v[100:101]            // 000000013910: D3B14064 1802C99E
	v_pk_mul_f32 v[102:103], v[158:159], v[102:103]            // 000000013918: D3B14066 1802CD9E
	v_pk_mul_f32 v[104:105], v[158:159], v[104:105]            // 000000013920: D3B14068 1802D19E
	v_pk_mul_f32 v[106:107], v[158:159], v[106:107]            // 000000013928: D3B1406A 1802D59E
	v_pk_mul_f32 v[108:109], v[160:161], v[108:109]            // 000000013930: D3B1406C 1802D9A0
	v_pk_mul_f32 v[110:111], v[160:161], v[110:111]            // 000000013938: D3B1406E 1802DDA0
	v_pk_mul_f32 v[112:113], v[160:161], v[112:113]            // 000000013940: D3B14070 1802E1A0
	v_pk_mul_f32 v[114:115], v[160:161], v[114:115]            // 000000013948: D3B14072 1802E5A0
	v_pk_mul_f32 v[116:117], v[162:163], v[116:117]            // 000000013950: D3B14074 1802E9A2
	v_pk_mul_f32 v[118:119], v[162:163], v[118:119]            // 000000013958: D3B14076 1802EDA2
	v_pk_mul_f32 v[120:121], v[162:163], v[120:121]            // 000000013960: D3B14078 1802F1A2
	v_pk_mul_f32 v[122:123], v[162:163], v[122:123]            // 000000013968: D3B1407A 1802F5A2
	s_waitcnt lgkmcnt(0)                                       // 000000013970: BF8CC07F
	s_barrier                                                  // 000000013974: BF8A0000
	ds_read_b128 v[172:175], v253                              // 000000013978: D9FE0000 AC0000FD
	ds_read_b128 v[176:179], v253 offset:256                   // 000000013980: D9FE0100 B00000FD
	ds_read_b128 v[180:183], v253 offset:512                   // 000000013988: D9FE0200 B40000FD
	ds_read_b128 v[184:187], v253 offset:768                   // 000000013990: D9FE0300 B80000FD
	v_pk_add_f32 v[124:125], v[124:125], v[100:101]            // 000000013998: D3B2407C 1802C97C
	v_pk_add_f32 v[126:127], v[126:127], v[102:103]            // 0000000139A0: D3B2407E 1802CD7E
	v_pk_add_f32 v[128:129], v[128:129], v[104:105]            // 0000000139A8: D3B24080 1802D180
	v_pk_add_f32 v[130:131], v[130:131], v[106:107]            // 0000000139B0: D3B24082 1802D582
	v_pk_add_f32 v[132:133], v[132:133], v[108:109]            // 0000000139B8: D3B24084 1802D984
	v_pk_add_f32 v[134:135], v[134:135], v[110:111]            // 0000000139C0: D3B24086 1802DD86
	v_pk_add_f32 v[136:137], v[136:137], v[112:113]            // 0000000139C8: D3B24088 1802E188
	v_pk_add_f32 v[138:139], v[138:139], v[114:115]            // 0000000139D0: D3B2408A 1802E58A
	v_pk_add_f32 v[140:141], v[140:141], v[116:117]            // 0000000139D8: D3B2408C 1802E98C
	v_pk_add_f32 v[142:143], v[142:143], v[118:119]            // 0000000139E0: D3B2408E 1802ED8E
	v_pk_add_f32 v[144:145], v[144:145], v[120:121]            // 0000000139E8: D3B24090 1802F190
	v_pk_add_f32 v[146:147], v[146:147], v[122:123]            // 0000000139F0: D3B24092 1802F592
	s_waitcnt lgkmcnt(0)                                       // 0000000139F8: BF8CC07F
	v_mov_b64_e32 v[206:207], 0                                // 0000000139FC: 7F9C7080
	v_mov_b32_e32 v208, 0                                      // 000000013A00: 7FA00280
	v_add_f32_e32 v206, v172, v206                             // 000000013A04: 039D9DAC
	v_add_f32_e32 v207, v173, v207                             // 000000013A08: 039F9FAD
	v_add_f32_e32 v208, v174, v208                             // 000000013A0C: 03A1A1AE
	v_add_f32_e32 v206, v176, v206                             // 000000013A10: 039D9DB0
	v_add_f32_e32 v207, v177, v207                             // 000000013A14: 039F9FB1
	v_add_f32_e32 v208, v178, v208                             // 000000013A18: 03A1A1B2
	v_add_f32_e32 v206, v180, v206                             // 000000013A1C: 039D9DB4
	v_add_f32_e32 v207, v181, v207                             // 000000013A20: 039F9FB5
	v_add_f32_e32 v208, v182, v208                             // 000000013A24: 03A1A1B6
	v_add_f32_e32 v206, v184, v206                             // 000000013A28: 039D9DB8
	v_add_f32_e32 v207, v185, v207                             // 000000013A2C: 039F9FB9
	v_add_f32_e32 v208, v186, v208                             // 000000013A30: 03A1A1BA
	v_rcp_f32_e32 v172, v206                                   // 000000013A34: 7F5845CE
	v_cmp_eq_u32_e64 s[54:55], 0, v206                         // 000000013A38: D0CA0036 00039C80
	s_nop 0                                                    // 000000013A40: BF800000
	v_cndmask_b32_e64 v172, v172, 0, s[54:55]                  // 000000013A44: D10000AC 00D901AC
	v_rcp_f32_e32 v173, v207                                   // 000000013A4C: 7F5A45CF
	v_cmp_eq_u32_e64 s[54:55], 0, v207                         // 000000013A50: D0CA0036 00039E80
	s_nop 0                                                    // 000000013A58: BF800000
	v_cndmask_b32_e64 v173, v173, 0, s[54:55]                  // 000000013A5C: D10000AD 00D901AD
	v_rcp_f32_e32 v174, v208                                   // 000000013A64: 7F5C45D0
	v_cmp_eq_u32_e64 s[54:55], 0, v208                         // 000000013A68: D0CA0036 0003A080
	s_nop 0                                                    // 000000013A70: BF800000
	v_cndmask_b32_e64 v174, v174, 0, s[54:55]                  // 000000013A74: D10000AE 00D901AE
	v_mul_f32_e32 v124, v172, v124                             // 000000013A7C: 0AF8F9AC
	v_mul_f32_e32 v125, v172, v125                             // 000000013A80: 0AFAFBAC
	v_mul_f32_e32 v126, v172, v126                             // 000000013A84: 0AFCFDAC
	v_mul_f32_e32 v127, v172, v127                             // 000000013A88: 0AFEFFAC
	v_mul_f32_e32 v128, v172, v128                             // 000000013A8C: 0B0101AC
	v_mul_f32_e32 v129, v172, v129                             // 000000013A90: 0B0303AC
	v_mul_f32_e32 v130, v172, v130                             // 000000013A94: 0B0505AC
	v_mul_f32_e32 v131, v172, v131                             // 000000013A98: 0B0707AC
	v_mul_f32_e32 v132, v173, v132                             // 000000013A9C: 0B0909AD
	v_mul_f32_e32 v133, v173, v133                             // 000000013AA0: 0B0B0BAD
	v_mul_f32_e32 v134, v173, v134                             // 000000013AA4: 0B0D0DAD
	v_mul_f32_e32 v135, v173, v135                             // 000000013AA8: 0B0F0FAD
	v_mul_f32_e32 v136, v173, v136                             // 000000013AAC: 0B1111AD
	v_mul_f32_e32 v137, v173, v137                             // 000000013AB0: 0B1313AD
	v_mul_f32_e32 v138, v173, v138                             // 000000013AB4: 0B1515AD
	v_mul_f32_e32 v139, v173, v139                             // 000000013AB8: 0B1717AD
	v_mul_f32_e32 v140, v174, v140                             // 000000013ABC: 0B1919AE
	v_mul_f32_e32 v141, v174, v141                             // 000000013AC0: 0B1B1BAE
	v_mul_f32_e32 v142, v174, v142                             // 000000013AC4: 0B1D1DAE
	v_mul_f32_e32 v143, v174, v143                             // 000000013AC8: 0B1F1FAE
	v_mul_f32_e32 v144, v174, v144                             // 000000013ACC: 0B2121AE
	v_mul_f32_e32 v145, v174, v145                             // 000000013AD0: 0B2323AE
	v_mul_f32_e32 v146, v174, v146                             // 000000013AD4: 0B2525AE
	v_mul_f32_e32 v147, v174, v147                             // 000000013AD8: 0B2727AE
	s_cmp_eq_i32 s73, -1                                       // 000000013ADC: BF00C149
	s_cbranch_scc0 label_457F                                  // 000000013AE0: BF8400C6
	v_cmp_u_f32_e64 s[98:99], v124, v124                       // 000000013AE4: D0480062 0002F97C
	v_add3_u32 v215, v124, v218, 1                             // 000000013AEC: D1FF00D7 0207B57C
	v_cndmask_b32_e64 v168, v215, v217, s[98:99]               // 000000013AF4: D10000A8 018BB3D7
	v_cmp_u_f32_e64 s[98:99], v125, v125                       // 000000013AFC: D0480062 0002FB7D
	v_add3_u32 v215, v125, v218, 1                             // 000000013B04: D1FF00D7 0207B57D
	v_cndmask_b32_e64 v169, v215, v217, s[98:99]               // 000000013B0C: D10000A9 018BB3D7
	v_perm_b32 v124, v169, v168, s56                           // 000000013B14: D1ED007C 00E351A9
	v_cmp_u_f32_e64 s[98:99], v126, v126                       // 000000013B1C: D0480062 0002FD7E
	v_add3_u32 v215, v126, v218, 1                             // 000000013B24: D1FF00D7 0207B57E
	v_cndmask_b32_e64 v168, v215, v217, s[98:99]               // 000000013B2C: D10000A8 018BB3D7
	v_cmp_u_f32_e64 s[98:99], v127, v127                       // 000000013B34: D0480062 0002FF7F
	v_add3_u32 v215, v127, v218, 1                             // 000000013B3C: D1FF00D7 0207B57F
	v_cndmask_b32_e64 v169, v215, v217, s[98:99]               // 000000013B44: D10000A9 018BB3D7
	v_perm_b32 v125, v169, v168, s56                           // 000000013B4C: D1ED007D 00E351A9
	v_cmp_u_f32_e64 s[98:99], v128, v128                       // 000000013B54: D0480062 00030180
	v_add3_u32 v215, v128, v218, 1                             // 000000013B5C: D1FF00D7 0207B580
	v_cndmask_b32_e64 v168, v215, v217, s[98:99]               // 000000013B64: D10000A8 018BB3D7
	v_cmp_u_f32_e64 s[98:99], v129, v129                       // 000000013B6C: D0480062 00030381
	v_add3_u32 v215, v129, v218, 1                             // 000000013B74: D1FF00D7 0207B581
	v_cndmask_b32_e64 v169, v215, v217, s[98:99]               // 000000013B7C: D10000A9 018BB3D7
	v_perm_b32 v126, v169, v168, s56                           // 000000013B84: D1ED007E 00E351A9
	v_cmp_u_f32_e64 s[98:99], v130, v130                       // 000000013B8C: D0480062 00030582
	v_add3_u32 v215, v130, v218, 1                             // 000000013B94: D1FF00D7 0207B582
	v_cndmask_b32_e64 v168, v215, v217, s[98:99]               // 000000013B9C: D10000A8 018BB3D7
	v_cmp_u_f32_e64 s[98:99], v131, v131                       // 000000013BA4: D0480062 00030783
	v_add3_u32 v215, v131, v218, 1                             // 000000013BAC: D1FF00D7 0207B583
	v_cndmask_b32_e64 v169, v215, v217, s[98:99]               // 000000013BB4: D10000A9 018BB3D7
	v_perm_b32 v127, v169, v168, s56                           // 000000013BBC: D1ED007F 00E351A9
	v_cmp_u_f32_e64 s[98:99], v132, v132                       // 000000013BC4: D0480062 00030984
	v_add3_u32 v215, v132, v218, 1                             // 000000013BCC: D1FF00D7 0207B584
	v_cndmask_b32_e64 v168, v215, v217, s[98:99]               // 000000013BD4: D10000A8 018BB3D7
	v_cmp_u_f32_e64 s[98:99], v133, v133                       // 000000013BDC: D0480062 00030B85
	v_add3_u32 v215, v133, v218, 1                             // 000000013BE4: D1FF00D7 0207B585
	v_cndmask_b32_e64 v169, v215, v217, s[98:99]               // 000000013BEC: D10000A9 018BB3D7
	v_perm_b32 v128, v169, v168, s56                           // 000000013BF4: D1ED0080 00E351A9
	v_cmp_u_f32_e64 s[98:99], v134, v134                       // 000000013BFC: D0480062 00030D86
	v_add3_u32 v215, v134, v218, 1                             // 000000013C04: D1FF00D7 0207B586
	v_cndmask_b32_e64 v168, v215, v217, s[98:99]               // 000000013C0C: D10000A8 018BB3D7
	v_cmp_u_f32_e64 s[98:99], v135, v135                       // 000000013C14: D0480062 00030F87
	v_add3_u32 v215, v135, v218, 1                             // 000000013C1C: D1FF00D7 0207B587
	v_cndmask_b32_e64 v169, v215, v217, s[98:99]               // 000000013C24: D10000A9 018BB3D7
	v_perm_b32 v129, v169, v168, s56                           // 000000013C2C: D1ED0081 00E351A9
	v_cmp_u_f32_e64 s[98:99], v136, v136                       // 000000013C34: D0480062 00031188
	v_add3_u32 v215, v136, v218, 1                             // 000000013C3C: D1FF00D7 0207B588
	v_cndmask_b32_e64 v168, v215, v217, s[98:99]               // 000000013C44: D10000A8 018BB3D7
	v_cmp_u_f32_e64 s[98:99], v137, v137                       // 000000013C4C: D0480062 00031389
	v_add3_u32 v215, v137, v218, 1                             // 000000013C54: D1FF00D7 0207B589
	v_cndmask_b32_e64 v169, v215, v217, s[98:99]               // 000000013C5C: D10000A9 018BB3D7
	v_perm_b32 v130, v169, v168, s56                           // 000000013C64: D1ED0082 00E351A9
	v_cmp_u_f32_e64 s[98:99], v138, v138                       // 000000013C6C: D0480062 0003158A
	v_add3_u32 v215, v138, v218, 1                             // 000000013C74: D1FF00D7 0207B58A
	v_cndmask_b32_e64 v168, v215, v217, s[98:99]               // 000000013C7C: D10000A8 018BB3D7
	v_cmp_u_f32_e64 s[98:99], v139, v139                       // 000000013C84: D0480062 0003178B
	v_add3_u32 v215, v139, v218, 1                             // 000000013C8C: D1FF00D7 0207B58B
	v_cndmask_b32_e64 v169, v215, v217, s[98:99]               // 000000013C94: D10000A9 018BB3D7
	v_perm_b32 v131, v169, v168, s56                           // 000000013C9C: D1ED0083 00E351A9
	v_cmp_u_f32_e64 s[98:99], v140, v140                       // 000000013CA4: D0480062 0003198C
	v_add3_u32 v215, v140, v218, 1                             // 000000013CAC: D1FF00D7 0207B58C
	v_cndmask_b32_e64 v168, v215, v217, s[98:99]               // 000000013CB4: D10000A8 018BB3D7
	v_cmp_u_f32_e64 s[98:99], v141, v141                       // 000000013CBC: D0480062 00031B8D
	v_add3_u32 v215, v141, v218, 1                             // 000000013CC4: D1FF00D7 0207B58D
	v_cndmask_b32_e64 v169, v215, v217, s[98:99]               // 000000013CCC: D10000A9 018BB3D7
	v_perm_b32 v132, v169, v168, s56                           // 000000013CD4: D1ED0084 00E351A9
	v_cmp_u_f32_e64 s[98:99], v142, v142                       // 000000013CDC: D0480062 00031D8E
	v_add3_u32 v215, v142, v218, 1                             // 000000013CE4: D1FF00D7 0207B58E
	v_cndmask_b32_e64 v168, v215, v217, s[98:99]               // 000000013CEC: D10000A8 018BB3D7
	v_cmp_u_f32_e64 s[98:99], v143, v143                       // 000000013CF4: D0480062 00031F8F
	v_add3_u32 v215, v143, v218, 1                             // 000000013CFC: D1FF00D7 0207B58F
	v_cndmask_b32_e64 v169, v215, v217, s[98:99]               // 000000013D04: D10000A9 018BB3D7
	v_perm_b32 v133, v169, v168, s56                           // 000000013D0C: D1ED0085 00E351A9
	v_cmp_u_f32_e64 s[98:99], v144, v144                       // 000000013D14: D0480062 00032190
	v_add3_u32 v215, v144, v218, 1                             // 000000013D1C: D1FF00D7 0207B590
	v_cndmask_b32_e64 v168, v215, v217, s[98:99]               // 000000013D24: D10000A8 018BB3D7
	v_cmp_u_f32_e64 s[98:99], v145, v145                       // 000000013D2C: D0480062 00032391
	v_add3_u32 v215, v145, v218, 1                             // 000000013D34: D1FF00D7 0207B591
	v_cndmask_b32_e64 v169, v215, v217, s[98:99]               // 000000013D3C: D10000A9 018BB3D7
	v_perm_b32 v134, v169, v168, s56                           // 000000013D44: D1ED0086 00E351A9
	v_cmp_u_f32_e64 s[98:99], v146, v146                       // 000000013D4C: D0480062 00032592
	v_add3_u32 v215, v146, v218, 1                             // 000000013D54: D1FF00D7 0207B592
	v_cndmask_b32_e64 v168, v215, v217, s[98:99]               // 000000013D5C: D10000A8 018BB3D7
	v_cmp_u_f32_e64 s[98:99], v147, v147                       // 000000013D64: D0480062 00032793
	v_add3_u32 v215, v147, v218, 1                             // 000000013D6C: D1FF00D7 0207B593
	v_cndmask_b32_e64 v169, v215, v217, s[98:99]               // 000000013D74: D10000A9 018BB3D7
	v_perm_b32 v135, v169, v168, s56                           // 000000013D7C: D1ED0087 00E351A9
	ds_write_b64 v250, v[124:125] offset:8192                  // 000000013D84: D89A2000 00007CFA
	ds_write_b64 v250, v[126:127] offset:10496                 // 000000013D8C: D89A2900 00007EFA
	ds_write_b64 v250, v[128:129] offset:12800                 // 000000013D94: D89A3200 000080FA
	ds_write_b64 v250, v[130:131] offset:15104                 // 000000013D9C: D89A3B00 000082FA
	ds_write_b64 v250, v[132:133] offset:17408                 // 000000013DA4: D89A4400 000084FA
	ds_write_b64 v250, v[134:135] offset:19712                 // 000000013DAC: D89A4D00 000086FA
	s_waitcnt lgkmcnt(0)                                       // 000000013DB4: BF8CC07F
	s_barrier                                                  // 000000013DB8: BF8A0000
	ds_read_b128 v[124:127], v251 offset:8192                  // 000000013DBC: D9FE2000 7C0000FB
	ds_read_b128 v[128:131], v251 offset:12800                 // 000000013DC4: D9FE3200 800000FB
	ds_read_b128 v[132:135], v251 offset:17408                 // 000000013DCC: D9FE4400 840000FB
	s_waitcnt lgkmcnt(2)                                       // 000000013DD4: BF8CC27F
	buffer_store_dwordx4 v[124:127], v229, s[4:7], 0 offen     // 000000013DD8: E07C1000 80017CE5
	s_waitcnt lgkmcnt(1)                                       // 000000013DE0: BF8CC17F
	buffer_store_dwordx4 v[128:131], v230, s[4:7], 0 offen     // 000000013DE4: E07C1000 800180E6
	s_waitcnt lgkmcnt(0)                                       // 000000013DEC: BF8CC07F
	buffer_store_dwordx4 v[132:135], v231, s[4:7], 0 offen     // 000000013DF0: E07C1000 800184E7
	s_branch label_45AB                                        // 000000013DF8: BF82002C

0000000000013dfc <label_457F>:
	v_rcp_f32_e32 v171, 0x3fb8aa3b                             // 000000013DFC: 7F5644FF 3FB8AA3B
	v_log_f32_e32 v168, v206                                   // 000000013E04: 7F5043CE
	v_mul_f32_e64 v169, v194, s46                              // 000000013E08: D10500A9 00005DC2
	v_add_f32_e32 v1, v168, v169                               // 000000013E10: 020353A8
	v_mul_f32_e32 v1, v1, v171                                 // 000000013E14: 0A035701
	buffer_store_dword v1, v240, s[32:35], 0 offen             // 000000013E18: E0701000 800801F0
	v_log_f32_e32 v168, v207                                   // 000000013E20: 7F5043CF
	v_mul_f32_e64 v169, v195, s46                              // 000000013E24: D10500A9 00005DC3
	v_add_f32_e32 v2, v168, v169                               // 000000013E2C: 020553A8
	v_mul_f32_e32 v2, v2, v171                                 // 000000013E30: 0A055702
	buffer_store_dword v2, v241, s[32:35], 0 offen             // 000000013E34: E0701000 800802F1
	v_log_f32_e32 v168, v208                                   // 000000013E3C: 7F5043D0
	v_mul_f32_e64 v169, v196, s46                              // 000000013E40: D10500A9 00005DC4
	v_add_f32_e32 v3, v168, v169                               // 000000013E48: 020753A8
	v_mul_f32_e32 v3, v3, v171                                 // 000000013E4C: 0A075703
	buffer_store_dword v3, v242, s[32:35], 0 offen             // 000000013E50: E0701000 800803F2
	v_add_u32_e32 v168, 0, v243                                // 000000013E58: 6951E680
	buffer_store_dwordx4 v[124:127], v168, s[28:31], 0 offen   // 000000013E5C: E07C1000 80077CA8
	v_add_u32_e32 v168, 0x100, v243                            // 000000013E64: 6951E6FF 00000100
	buffer_store_dwordx4 v[128:131], v168, s[28:31], 0 offen   // 000000013E6C: E07C1000 800780A8
	v_add_u32_e32 v168, 0, v244                                // 000000013E74: 6951E880
	buffer_store_dwordx4 v[132:135], v168, s[28:31], 0 offen   // 000000013E78: E07C1000 800784A8
	v_add_u32_e32 v168, 0x100, v244                            // 000000013E80: 6951E8FF 00000100
	buffer_store_dwordx4 v[136:139], v168, s[28:31], 0 offen   // 000000013E88: E07C1000 800788A8
	v_add_u32_e32 v168, 0, v245                                // 000000013E90: 6951EA80
	buffer_store_dwordx4 v[140:143], v168, s[28:31], 0 offen   // 000000013E94: E07C1000 80078CA8
	v_add_u32_e32 v168, 0x100, v245                            // 000000013E9C: 6951EAFF 00000100
	buffer_store_dwordx4 v[144:147], v168, s[28:31], 0 offen   // 000000013EA4: E07C1000 800790A8

0000000000013eac <label_45AB>:
	s_addk_i32 s80, 0x1                                        // 000000013EAC: B7500001
	s_branch label_0221                                        // 000000013EB0: BF82BC74

0000000000013eb4 <label_45AD>:
	s_waitcnt vmcnt(0) expcnt(0) lgkmcnt(0)                    // 000000013EB4: BF8C0000
	s_endpgm                                                   // 000000013EB8: BF810000
